;; amdgpu-corpus repo=ROCm/rocFFT kind=compiled arch=gfx950 opt=O3
	.text
	.amdgcn_target "amdgcn-amd-amdhsa--gfx950"
	.amdhsa_code_object_version 6
	.protected	bluestein_single_back_len182_dim1_dp_op_CI_CI ; -- Begin function bluestein_single_back_len182_dim1_dp_op_CI_CI
	.globl	bluestein_single_back_len182_dim1_dp_op_CI_CI
	.p2align	8
	.type	bluestein_single_back_len182_dim1_dp_op_CI_CI,@function
bluestein_single_back_len182_dim1_dp_op_CI_CI: ; @bluestein_single_back_len182_dim1_dp_op_CI_CI
; %bb.0:
	s_load_dwordx4 s[4:7], s[0:1], 0x28
	v_mul_u32_u24_e32 v1, 0x13b2, v0
	v_lshrrev_b32_e32 v72, 16, v1
	v_mov_b32_e32 v205, 0
	v_lshl_add_u32 v234, s2, 2, v72
	v_mov_b32_e32 v235, v205
	s_waitcnt lgkmcnt(0)
	v_cmp_gt_u64_e32 vcc, s[4:5], v[234:235]
	s_and_saveexec_b64 s[2:3], vcc
	s_cbranch_execz .LBB0_15
; %bb.1:
	s_load_dwordx4 s[12:15], s[0:1], 0x18
	s_load_dwordx2 s[2:3], s[0:1], 0x0
	v_mul_lo_u16_e32 v1, 13, v72
	v_sub_u16_e32 v18, v0, v1
	v_mov_b32_e32 v2, s6
	s_waitcnt lgkmcnt(0)
	s_load_dwordx4 s[8:11], s[12:13], 0x0
	v_mov_b32_e32 v3, s7
	v_lshlrev_b32_e32 v204, 4, v18
	v_or_b32_e32 v237, 0x70, v18
	v_cmp_eq_u16_e32 vcc, 0, v18
	s_waitcnt lgkmcnt(0)
	v_mad_u64_u32 v[0:1], s[4:5], s10, v234, 0
	v_mov_b32_e32 v4, v1
	v_mad_u64_u32 v[4:5], s[4:5], s11, v234, v[4:5]
	v_mov_b32_e32 v1, v4
	;; [unrolled: 2-line block ×4, first 2 shown]
	v_lshl_add_u64 v[80:81], v[0:1], 4, v[2:3]
	v_lshl_add_u64 v[0:1], v[4:5], 4, v[80:81]
	v_mov_b32_e32 v6, 0xe0
	global_load_dwordx4 v[52:55], v[0:1], off
	v_mad_u64_u32 v[0:1], s[4:5], s8, v6, v[0:1]
	s_mul_i32 s4, s9, 0xe0
	s_nop 0
	v_add_u32_e32 v1, s4, v1
	v_mad_u64_u32 v[2:3], s[6:7], s8, v6, v[0:1]
	global_load_dwordx4 v[112:115], v204, s[2:3]
	global_load_dwordx4 v[24:27], v204, s[2:3] offset:224
	v_add_u32_e32 v3, s4, v3
	global_load_dwordx4 v[60:63], v[0:1], off
	global_load_dwordx4 v[56:59], v[2:3], off
	v_mad_u64_u32 v[0:1], s[6:7], s8, v6, v[2:3]
	v_add_u32_e32 v1, s4, v1
	global_load_dwordx4 v[40:43], v204, s[2:3] offset:448
	global_load_dwordx4 v[36:39], v204, s[2:3] offset:672
	v_mad_u64_u32 v[2:3], s[6:7], s8, v6, v[0:1]
	v_add_u32_e32 v3, s4, v3
	global_load_dwordx4 v[68:71], v[0:1], off
	global_load_dwordx4 v[64:67], v[2:3], off
	v_mad_u64_u32 v[0:1], s[6:7], s8, v6, v[2:3]
	v_add_u32_e32 v1, s4, v1
	global_load_dwordx4 v[74:77], v[0:1], off
	global_load_dwordx4 v[48:51], v204, s[2:3] offset:896
	global_load_dwordx4 v[28:31], v204, s[2:3] offset:1120
	v_mad_u64_u32 v[0:1], s[6:7], s8, v6, v[0:1]
	v_add_u32_e32 v1, s4, v1
	v_mad_u64_u32 v[2:3], s[6:7], s8, v237, 0
	global_load_dwordx4 v[82:85], v[0:1], off
	v_mad_u64_u32 v[0:1], s[6:7], s8, v6, v[0:1]
	v_mov_b32_e32 v4, v3
	v_add_u32_e32 v1, s4, v1
	v_mad_u64_u32 v[4:5], s[6:7], s9, v237, v[4:5]
	global_load_dwordx4 v[86:89], v[0:1], off
	global_load_dwordx4 v[44:47], v204, s[2:3] offset:1344
	global_load_dwordx4 v[20:23], v204, s[2:3] offset:1568
	v_mov_b32_e32 v3, v4
	v_lshl_add_u64 v[2:3], v[2:3], 4, v[80:81]
	global_load_dwordx4 v[90:93], v[2:3], off
	v_mov_b32_e32 v2, 0x1c0
	global_load_dwordx4 v[116:119], v204, s[2:3] offset:1792
	v_mad_u64_u32 v[0:1], s[6:7], s8, v2, v[0:1]
	s_mul_i32 s5, s9, 0x1c0
	v_add_u32_e32 v1, s5, v1
	global_load_dwordx4 v[94:97], v[0:1], off
	global_load_dwordx4 v[32:35], v204, s[2:3] offset:2016
	v_mad_u64_u32 v[0:1], s[6:7], s8, v6, v[0:1]
	v_add_u32_e32 v1, s4, v1
	global_load_dwordx4 v[98:101], v[0:1], off
	global_load_dwordx4 v[2:5], v204, s[2:3] offset:2240
	v_mad_u64_u32 v[0:1], s[6:7], s8, v6, v[0:1]
	;; [unrolled: 4-line block ×3, first 2 shown]
	v_add_u32_e32 v1, s4, v1
	global_load_dwordx4 v[106:109], v[0:1], off
	global_load_dwordx4 v[12:15], v204, s[2:3] offset:2688
	v_and_b32_e32 v0, 3, v72
	v_mul_u32_u24_e32 v216, 0xb6, v0
	v_lshlrev_b32_e32 v233, 4, v216
	v_add_u32_e32 v235, v233, v204
	s_load_dwordx2 s[10:11], s[0:1], 0x38
	s_load_dwordx4 s[4:7], s[14:15], 0x0
	s_waitcnt vmcnt(24)
	v_accvgpr_write_b32 a38, v112
	v_mul_f64 v[110:111], v[54:55], v[114:115]
	v_mul_f64 v[0:1], v[52:53], v[114:115]
	v_fmac_f64_e32 v[110:111], v[52:53], v[112:113]
	v_accvgpr_write_b32 a39, v113
	v_accvgpr_write_b32 a40, v114
	;; [unrolled: 1-line block ×3, first 2 shown]
	v_fma_f64 v[112:113], v[54:55], v[112:113], -v[0:1]
	s_waitcnt vmcnt(22)
	v_mul_f64 v[52:53], v[62:63], v[26:27]
	v_mul_f64 v[0:1], v[60:61], v[26:27]
	v_fmac_f64_e32 v[52:53], v[60:61], v[24:25]
	v_fma_f64 v[54:55], v[62:63], v[24:25], -v[0:1]
	ds_write_b128 v235, v[52:55] offset:224
	s_waitcnt vmcnt(20)
	v_mul_f64 v[52:53], v[58:59], v[42:43]
	v_mul_f64 v[0:1], v[56:57], v[42:43]
	v_fmac_f64_e32 v[52:53], v[56:57], v[40:41]
	v_fma_f64 v[54:55], v[58:59], v[40:41], -v[0:1]
	ds_write_b128 v235, v[52:55] offset:448
	;; [unrolled: 6-line block ×10, first 2 shown]
	s_waitcnt vmcnt(2)
	v_mul_f64 v[52:53], v[104:105], v[10:11]
	v_mul_f64 v[0:1], v[102:103], v[10:11]
	v_fmac_f64_e32 v[52:53], v[102:103], v[8:9]
	v_fma_f64 v[54:55], v[104:105], v[8:9], -v[0:1]
	v_accvgpr_write_b32 a18, v24
	v_accvgpr_write_b32 a34, v40
	;; [unrolled: 1-line block ×9, first 2 shown]
	ds_write_b128 v235, v[52:55] offset:2464
	s_waitcnt vmcnt(0)
	v_mul_f64 v[52:53], v[108:109], v[14:15]
	v_mul_f64 v[0:1], v[106:107], v[14:15]
	v_accvgpr_write_b32 a10, v12
	v_accvgpr_write_b32 a19, v25
	;; [unrolled: 1-line block ×28, first 2 shown]
	v_fmac_f64_e32 v[52:53], v[106:107], v[12:13]
	v_accvgpr_write_b32 a11, v13
	v_accvgpr_write_b32 a12, v14
	;; [unrolled: 1-line block ×3, first 2 shown]
	v_fma_f64 v[54:55], v[108:109], v[12:13], -v[0:1]
	ds_write_b128 v235, v[110:113]
	ds_write_b128 v235, v[52:55] offset:2688
	s_and_saveexec_b64 s[12:13], vcc
	s_cbranch_execz .LBB0_3
; %bb.2:
	v_mov_b32_e32 v0, 0xd0
	v_mad_u64_u32 v[0:1], s[14:15], s8, v0, v[80:81]
	s_mul_i32 s14, s9, 0xd0
	s_nop 0
	v_add_u32_e32 v1, s14, v1
	global_load_dwordx4 v[52:55], v[0:1], off
	v_mov_b32_e32 v0, 0x1b0
	v_mad_u64_u32 v[0:1], s[14:15], s8, v0, v[80:81]
	s_mul_i32 s14, s9, 0x1b0
	s_nop 0
	v_add_u32_e32 v1, s14, v1
	global_load_dwordx4 v[56:59], v[0:1], off
	;; [unrolled: 6-line block ×12, first 2 shown]
	v_mov_b32_e32 v0, 0xb50
	v_mad_u64_u32 v[0:1], s[14:15], s8, v0, v[80:81]
	s_mul_i32 s8, s9, 0xb50
	v_add_u32_e32 v1, s8, v1
	global_load_dwordx4 v[102:105], v[0:1], off
	s_load_dwordx4 s[16:19], s[2:3], 0xd0
	s_load_dwordx4 s[20:23], s[2:3], 0x1b0
	s_waitcnt vmcnt(12) lgkmcnt(0)
	v_mul_f64 v[106:107], v[54:55], s[18:19]
	v_mul_f64 v[0:1], v[52:53], s[18:19]
	v_fmac_f64_e32 v[106:107], s[16:17], v[52:53]
	v_fma_f64 v[108:109], v[54:55], s[16:17], -v[0:1]
	s_load_dwordx4 s[16:19], s[2:3], 0x290
	ds_write_b128 v233, v[106:109] offset:208
	s_waitcnt vmcnt(11)
	v_mul_f64 v[110:111], v[58:59], s[22:23]
	v_mul_f64 v[0:1], v[56:57], s[22:23]
	v_fmac_f64_e32 v[110:111], s[20:21], v[56:57]
	v_fma_f64 v[112:113], v[58:59], s[20:21], -v[0:1]
	s_load_dwordx4 s[20:23], s[2:3], 0x370
	ds_write_b128 v233, v[110:113] offset:432
	s_waitcnt vmcnt(10) lgkmcnt(0)
	v_mul_f64 v[52:53], v[62:63], s[18:19]
	v_mul_f64 v[0:1], v[60:61], s[18:19]
	v_fmac_f64_e32 v[52:53], s[16:17], v[60:61]
	v_fma_f64 v[54:55], v[62:63], s[16:17], -v[0:1]
	s_load_dwordx4 s[16:19], s[2:3], 0x450
	ds_write_b128 v233, v[52:55] offset:656
	s_waitcnt vmcnt(9)
	v_mul_f64 v[52:53], v[66:67], s[22:23]
	v_mul_f64 v[0:1], v[64:65], s[22:23]
	v_fmac_f64_e32 v[52:53], s[20:21], v[64:65]
	v_fma_f64 v[54:55], v[66:67], s[20:21], -v[0:1]
	s_load_dwordx4 s[20:23], s[2:3], 0x530
	ds_write_b128 v233, v[52:55] offset:880
	;; [unrolled: 14-line block ×5, first 2 shown]
	s_waitcnt vmcnt(2) lgkmcnt(0)
	v_mul_f64 v[52:53], v[96:97], s[18:19]
	v_mul_f64 v[0:1], v[94:95], s[18:19]
	v_fmac_f64_e32 v[52:53], s[16:17], v[94:95]
	v_fma_f64 v[54:55], v[96:97], s[16:17], -v[0:1]
	s_load_dwordx4 s[16:19], s[2:3], 0xb50
	ds_write_b128 v233, v[52:55] offset:2448
	s_waitcnt vmcnt(1)
	v_mul_f64 v[52:53], v[100:101], s[22:23]
	v_mul_f64 v[0:1], v[98:99], s[22:23]
	v_fmac_f64_e32 v[52:53], s[20:21], v[98:99]
	v_fma_f64 v[54:55], v[100:101], s[20:21], -v[0:1]
	ds_write_b128 v233, v[52:55] offset:2672
	s_waitcnt vmcnt(0) lgkmcnt(0)
	v_mul_f64 v[52:53], v[104:105], s[18:19]
	v_mul_f64 v[0:1], v[102:103], s[18:19]
	v_fmac_f64_e32 v[52:53], s[16:17], v[102:103]
	v_fma_f64 v[54:55], v[104:105], s[16:17], -v[0:1]
	ds_write_b128 v233, v[52:55] offset:2896
.LBB0_3:
	s_or_b64 exec, exec, s[12:13]
	s_waitcnt lgkmcnt(0)
	; wave barrier
	s_waitcnt lgkmcnt(0)
	ds_read_b128 v[88:91], v235
	ds_read_b128 v[96:99], v235 offset:224
	ds_read_b128 v[84:87], v235 offset:448
	;; [unrolled: 1-line block ×12, first 2 shown]
	s_load_dwordx2 s[0:1], s[0:1], 0x8
                                        ; implicit-def: $vgpr100_vgpr101
                                        ; implicit-def: $vgpr104_vgpr105
                                        ; implicit-def: $vgpr108_vgpr109
                                        ; implicit-def: $vgpr112_vgpr113
                                        ; implicit-def: $vgpr116_vgpr117
                                        ; implicit-def: $vgpr120_vgpr121
                                        ; implicit-def: $vgpr124_vgpr125
                                        ; implicit-def: $vgpr128_vgpr129
                                        ; implicit-def: $vgpr132_vgpr133
                                        ; implicit-def: $vgpr136_vgpr137
                                        ; implicit-def: $vgpr140_vgpr141
                                        ; implicit-def: $vgpr144_vgpr145
                                        ; implicit-def: $vgpr148_vgpr149
	s_and_saveexec_b64 s[8:9], vcc
	s_cbranch_execz .LBB0_5
; %bb.4:
	ds_read_b128 v[100:103], v233 offset:208
	ds_read_b128 v[104:107], v233 offset:432
	;; [unrolled: 1-line block ×13, first 2 shown]
.LBB0_5:
	s_or_b64 exec, exec, s[8:9]
	s_waitcnt lgkmcnt(0)
	v_add_f64 v[0:1], v[88:89], v[96:97]
	v_add_f64 v[0:1], v[0:1], v[84:85]
	;; [unrolled: 1-line block ×18, first 2 shown]
	s_mov_b32 s46, 0x4267c47c
	s_mov_b32 s30, 0x42a4c3d2
	;; [unrolled: 1-line block ×6, first 2 shown]
	v_add_f64 v[2:3], v[2:3], v[74:75]
	v_add_f64 v[0:1], v[0:1], v[92:93]
	v_add_f64 v[6:7], v[98:99], -v[158:159]
	s_mov_b32 s47, 0xbfddbe06
	s_mov_b32 s31, 0xbfea55e2
	;; [unrolled: 1-line block ×7, first 2 shown]
	v_add_f64 v[2:3], v[2:3], v[82:83]
	v_add_f64 v[152:153], v[0:1], v[156:157]
	;; [unrolled: 1-line block ×3, first 2 shown]
	v_add_f64 v[4:5], v[96:97], -v[156:157]
	v_mul_f64 v[8:9], v[6:7], s[46:47]
	s_mov_b32 s20, 0xe00740e9
	v_mul_f64 v[156:157], v[6:7], s[30:31]
	s_mov_b32 s14, 0x1ea71119
	;; [unrolled: 2-line block ×6, first 2 shown]
	v_add_f64 v[2:3], v[2:3], v[94:95]
	s_mov_b32 s21, 0x3fec55a7
	s_mov_b32 s15, 0x3fe22d96
	;; [unrolled: 1-line block ×5, first 2 shown]
	v_fma_f64 v[188:189], v[0:1], s[26:27], -v[6:7]
	v_fmac_f64_e32 v[6:7], s[26:27], v[0:1]
	v_add_f64 v[154:155], v[2:3], v[158:159]
	v_add_f64 v[2:3], v[98:99], v[158:159]
	v_fma_f64 v[10:11], v[0:1], s[20:21], -v[8:9]
	v_mul_f64 v[96:97], v[4:5], s[46:47]
	v_fmac_f64_e32 v[8:9], s[20:21], v[0:1]
	v_fma_f64 v[158:159], v[0:1], s[14:15], -v[156:157]
	v_mul_f64 v[160:161], v[4:5], s[30:31]
	v_fmac_f64_e32 v[156:157], s[14:15], v[0:1]
	;; [unrolled: 3-line block ×5, first 2 shown]
	v_mul_f64 v[4:5], v[4:5], s[28:29]
	v_add_f64 v[0:1], v[88:89], v[6:7]
	v_add_f64 v[6:7], v[86:87], v[94:95]
	v_add_f64 v[86:87], v[86:87], -v[94:95]
	v_add_f64 v[10:11], v[88:89], v[10:11]
	v_fma_f64 v[98:99], s[20:21], v[2:3], v[96:97]
	v_add_f64 v[8:9], v[88:89], v[8:9]
	v_fma_f64 v[96:97], v[2:3], s[20:21], -v[96:97]
	v_add_f64 v[158:159], v[88:89], v[158:159]
	v_fma_f64 v[162:163], s[14:15], v[2:3], v[160:161]
	v_add_f64 v[156:157], v[88:89], v[156:157]
	v_fma_f64 v[160:161], v[2:3], s[14:15], -v[160:161]
	v_add_f64 v[166:167], v[88:89], v[166:167]
	v_fma_f64 v[170:171], s[8:9], v[2:3], v[168:169]
	v_add_f64 v[164:165], v[88:89], v[164:165]
	v_fma_f64 v[168:169], v[2:3], s[8:9], -v[168:169]
	v_add_f64 v[174:175], v[88:89], v[174:175]
	v_fma_f64 v[178:179], s[12:13], v[2:3], v[176:177]
	v_add_f64 v[172:173], v[88:89], v[172:173]
	v_fma_f64 v[176:177], v[2:3], s[12:13], -v[176:177]
	v_add_f64 v[182:183], v[88:89], v[182:183]
	v_fma_f64 v[186:187], s[22:23], v[2:3], v[184:185]
	v_add_f64 v[180:181], v[88:89], v[180:181]
	v_fma_f64 v[184:185], v[2:3], s[22:23], -v[184:185]
	v_add_f64 v[188:189], v[88:89], v[188:189]
	v_fma_f64 v[190:191], s[26:27], v[2:3], v[4:5]
	v_fma_f64 v[2:3], v[2:3], s[26:27], -v[4:5]
	v_add_f64 v[4:5], v[84:85], v[92:93]
	v_mul_f64 v[88:89], v[86:87], s[30:31]
	v_add_f64 v[98:99], v[90:91], v[98:99]
	v_add_f64 v[96:97], v[90:91], v[96:97]
	;; [unrolled: 1-line block ×12, first 2 shown]
	v_add_f64 v[84:85], v[84:85], -v[92:93]
	v_fma_f64 v[90:91], v[4:5], s[14:15], -v[88:89]
	v_add_f64 v[10:11], v[90:91], v[10:11]
	v_mul_f64 v[90:91], v[84:85], s[30:31]
	v_fmac_f64_e32 v[88:89], s[14:15], v[4:5]
	v_fma_f64 v[92:93], s[14:15], v[6:7], v[90:91]
	v_add_f64 v[8:9], v[88:89], v[8:9]
	v_fma_f64 v[88:89], v[6:7], s[14:15], -v[90:91]
	v_mul_f64 v[90:91], v[86:87], s[16:17]
	v_add_f64 v[88:89], v[88:89], v[96:97]
	v_fma_f64 v[94:95], v[4:5], s[12:13], -v[90:91]
	v_mul_f64 v[96:97], v[84:85], s[16:17]
	v_fmac_f64_e32 v[90:91], s[12:13], v[4:5]
	v_add_f64 v[92:93], v[92:93], v[98:99]
	v_fma_f64 v[98:99], s[12:13], v[6:7], v[96:97]
	v_add_f64 v[90:91], v[90:91], v[156:157]
	v_fma_f64 v[96:97], v[6:7], s[12:13], -v[96:97]
	v_mul_f64 v[156:157], v[86:87], s[28:29]
	v_add_f64 v[94:95], v[94:95], v[158:159]
	v_add_f64 v[96:97], v[96:97], v[160:161]
	v_fma_f64 v[158:159], v[4:5], s[26:27], -v[156:157]
	v_mul_f64 v[160:161], v[84:85], s[28:29]
	v_fmac_f64_e32 v[156:157], s[26:27], v[4:5]
	s_mov_b32 s41, 0x3fe5384d
	s_mov_b32 s40, s24
	v_add_f64 v[98:99], v[98:99], v[162:163]
	v_fma_f64 v[162:163], s[26:27], v[6:7], v[160:161]
	v_add_f64 v[156:157], v[156:157], v[164:165]
	v_fma_f64 v[160:161], v[6:7], s[26:27], -v[160:161]
	v_mul_f64 v[164:165], v[86:87], s[40:41]
	v_add_f64 v[158:159], v[158:159], v[166:167]
	v_add_f64 v[160:161], v[160:161], v[168:169]
	v_fma_f64 v[166:167], v[4:5], s[22:23], -v[164:165]
	v_mul_f64 v[168:169], v[84:85], s[40:41]
	v_fmac_f64_e32 v[164:165], s[22:23], v[4:5]
	s_mov_b32 s19, 0x3fefc445
	s_mov_b32 s18, s38
	v_add_f64 v[162:163], v[162:163], v[170:171]
	v_fma_f64 v[170:171], s[22:23], v[6:7], v[168:169]
	v_add_f64 v[164:165], v[164:165], v[172:173]
	v_fma_f64 v[168:169], v[6:7], s[22:23], -v[168:169]
	v_mul_f64 v[172:173], v[86:87], s[18:19]
	s_mov_b32 s35, 0x3fddbe06
	s_mov_b32 s34, s46
	v_add_f64 v[166:167], v[166:167], v[174:175]
	v_add_f64 v[168:169], v[168:169], v[176:177]
	v_fma_f64 v[174:175], v[4:5], s[8:9], -v[172:173]
	v_mul_f64 v[176:177], v[84:85], s[18:19]
	v_fmac_f64_e32 v[172:173], s[8:9], v[4:5]
	v_mul_f64 v[86:87], v[86:87], s[34:35]
	v_mul_f64 v[84:85], v[84:85], s[34:35]
	v_add_f64 v[170:171], v[170:171], v[178:179]
	v_add_f64 v[174:175], v[174:175], v[182:183]
	v_fma_f64 v[178:179], s[8:9], v[6:7], v[176:177]
	v_add_f64 v[172:173], v[172:173], v[180:181]
	v_fma_f64 v[176:177], v[6:7], s[8:9], -v[176:177]
	v_fma_f64 v[180:181], v[4:5], s[20:21], -v[86:87]
	v_fma_f64 v[182:183], s[20:21], v[6:7], v[84:85]
	v_fmac_f64_e32 v[86:87], s[20:21], v[4:5]
	v_fma_f64 v[4:5], v[6:7], s[20:21], -v[84:85]
	v_add_f64 v[6:7], v[78:79], v[82:83]
	v_add_f64 v[78:79], v[78:79], -v[82:83]
	v_add_f64 v[2:3], v[4:5], v[2:3]
	v_add_f64 v[4:5], v[76:77], v[80:81]
	v_add_f64 v[76:77], v[76:77], -v[80:81]
	v_mul_f64 v[80:81], v[78:79], s[38:39]
	v_fma_f64 v[82:83], v[4:5], s[8:9], -v[80:81]
	v_add_f64 v[10:11], v[82:83], v[10:11]
	v_mul_f64 v[82:83], v[76:77], s[38:39]
	v_fmac_f64_e32 v[80:81], s[8:9], v[4:5]
	v_fma_f64 v[84:85], s[8:9], v[6:7], v[82:83]
	v_add_f64 v[8:9], v[80:81], v[8:9]
	v_fma_f64 v[80:81], v[6:7], s[8:9], -v[82:83]
	v_mul_f64 v[82:83], v[78:79], s[28:29]
	v_add_f64 v[0:1], v[86:87], v[0:1]
	v_add_f64 v[80:81], v[80:81], v[88:89]
	v_fma_f64 v[86:87], v[4:5], s[26:27], -v[82:83]
	v_mul_f64 v[88:89], v[76:77], s[28:29]
	v_fmac_f64_e32 v[82:83], s[26:27], v[4:5]
	s_mov_b32 s45, 0x3fedeba7
	s_mov_b32 s44, s16
	v_add_f64 v[84:85], v[84:85], v[92:93]
	v_fma_f64 v[92:93], s[26:27], v[6:7], v[88:89]
	v_add_f64 v[82:83], v[82:83], v[90:91]
	v_fma_f64 v[88:89], v[6:7], s[26:27], -v[88:89]
	v_mul_f64 v[90:91], v[78:79], s[44:45]
	v_add_f64 v[86:87], v[86:87], v[94:95]
	v_add_f64 v[88:89], v[88:89], v[96:97]
	v_fma_f64 v[94:95], v[4:5], s[12:13], -v[90:91]
	v_mul_f64 v[96:97], v[76:77], s[44:45]
	v_fmac_f64_e32 v[90:91], s[12:13], v[4:5]
	v_add_f64 v[92:93], v[92:93], v[98:99]
	v_fma_f64 v[98:99], s[12:13], v[6:7], v[96:97]
	v_add_f64 v[90:91], v[90:91], v[156:157]
	v_fma_f64 v[96:97], v[6:7], s[12:13], -v[96:97]
	v_mul_f64 v[156:157], v[78:79], s[34:35]
	v_add_f64 v[94:95], v[94:95], v[158:159]
	v_add_f64 v[96:97], v[96:97], v[160:161]
	v_fma_f64 v[158:159], v[4:5], s[20:21], -v[156:157]
	v_mul_f64 v[160:161], v[76:77], s[34:35]
	v_fmac_f64_e32 v[156:157], s[20:21], v[4:5]
	;; [unrolled: 10-line block ×3, first 2 shown]
	v_mul_f64 v[78:79], v[78:79], s[24:25]
	v_mul_f64 v[76:77], v[76:77], s[24:25]
	v_add_f64 v[162:163], v[162:163], v[170:171]
	v_add_f64 v[166:167], v[166:167], v[174:175]
	v_fma_f64 v[170:171], s[14:15], v[6:7], v[168:169]
	v_add_f64 v[164:165], v[164:165], v[172:173]
	v_fma_f64 v[168:169], v[6:7], s[14:15], -v[168:169]
	v_fma_f64 v[172:173], v[4:5], s[22:23], -v[78:79]
	v_fma_f64 v[174:175], s[22:23], v[6:7], v[76:77]
	v_fmac_f64_e32 v[78:79], s[22:23], v[4:5]
	v_fma_f64 v[4:5], v[6:7], s[22:23], -v[76:77]
	v_add_f64 v[6:7], v[70:71], v[74:75]
	v_add_f64 v[70:71], v[70:71], -v[74:75]
	v_add_f64 v[2:3], v[4:5], v[2:3]
	v_add_f64 v[4:5], v[68:69], v[72:73]
	v_add_f64 v[68:69], v[68:69], -v[72:73]
	v_mul_f64 v[72:73], v[70:71], s[16:17]
	v_fma_f64 v[74:75], v[4:5], s[12:13], -v[72:73]
	v_add_f64 v[10:11], v[74:75], v[10:11]
	v_mul_f64 v[74:75], v[68:69], s[16:17]
	v_fmac_f64_e32 v[72:73], s[12:13], v[4:5]
	v_fma_f64 v[76:77], s[12:13], v[6:7], v[74:75]
	v_add_f64 v[8:9], v[72:73], v[8:9]
	v_fma_f64 v[72:73], v[6:7], s[12:13], -v[74:75]
	v_mul_f64 v[74:75], v[70:71], s[40:41]
	v_add_f64 v[0:1], v[78:79], v[0:1]
	v_add_f64 v[72:73], v[72:73], v[80:81]
	v_fma_f64 v[78:79], v[4:5], s[22:23], -v[74:75]
	v_mul_f64 v[80:81], v[68:69], s[40:41]
	v_fmac_f64_e32 v[74:75], s[22:23], v[4:5]
	v_add_f64 v[76:77], v[76:77], v[84:85]
	v_fma_f64 v[84:85], s[22:23], v[6:7], v[80:81]
	v_add_f64 v[74:75], v[74:75], v[82:83]
	v_fma_f64 v[80:81], v[6:7], s[22:23], -v[80:81]
	v_mul_f64 v[82:83], v[70:71], s[34:35]
	v_add_f64 v[78:79], v[78:79], v[86:87]
	v_add_f64 v[80:81], v[80:81], v[88:89]
	v_fma_f64 v[86:87], v[4:5], s[20:21], -v[82:83]
	v_mul_f64 v[88:89], v[68:69], s[34:35]
	v_fmac_f64_e32 v[82:83], s[20:21], v[4:5]
	v_add_f64 v[84:85], v[84:85], v[92:93]
	v_fma_f64 v[92:93], s[20:21], v[6:7], v[88:89]
	v_add_f64 v[82:83], v[82:83], v[90:91]
	v_fma_f64 v[88:89], v[6:7], s[20:21], -v[88:89]
	v_mul_f64 v[90:91], v[70:71], s[38:39]
	v_add_f64 v[86:87], v[86:87], v[94:95]
	v_add_f64 v[88:89], v[88:89], v[96:97]
	v_fma_f64 v[94:95], v[4:5], s[8:9], -v[90:91]
	v_mul_f64 v[96:97], v[68:69], s[38:39]
	v_fmac_f64_e32 v[90:91], s[8:9], v[4:5]
	s_mov_b32 s43, 0x3fcea1e5
	s_mov_b32 s42, s28
	v_add_f64 v[92:93], v[92:93], v[98:99]
	v_fma_f64 v[98:99], s[8:9], v[6:7], v[96:97]
	v_add_f64 v[90:91], v[90:91], v[156:157]
	v_fma_f64 v[96:97], v[6:7], s[8:9], -v[96:97]
	v_mul_f64 v[156:157], v[70:71], s[42:43]
	s_mov_b32 s37, 0x3fea55e2
	s_mov_b32 s36, s30
	v_add_f64 v[94:95], v[94:95], v[158:159]
	v_add_f64 v[96:97], v[96:97], v[160:161]
	v_fma_f64 v[158:159], v[4:5], s[26:27], -v[156:157]
	v_mul_f64 v[160:161], v[68:69], s[42:43]
	v_fmac_f64_e32 v[156:157], s[26:27], v[4:5]
	v_mul_f64 v[70:71], v[70:71], s[36:37]
	v_mul_f64 v[68:69], v[68:69], s[36:37]
	v_add_f64 v[98:99], v[98:99], v[162:163]
	v_add_f64 v[158:159], v[158:159], v[166:167]
	v_fma_f64 v[162:163], s[26:27], v[6:7], v[160:161]
	v_add_f64 v[156:157], v[156:157], v[164:165]
	v_fma_f64 v[160:161], v[6:7], s[26:27], -v[160:161]
	v_fma_f64 v[164:165], v[4:5], s[14:15], -v[70:71]
	v_fma_f64 v[166:167], s[14:15], v[6:7], v[68:69]
	v_fmac_f64_e32 v[70:71], s[14:15], v[4:5]
	v_fma_f64 v[4:5], v[6:7], s[14:15], -v[68:69]
	v_add_f64 v[6:7], v[62:63], v[66:67]
	v_add_f64 v[62:63], v[62:63], -v[66:67]
	v_add_f64 v[2:3], v[4:5], v[2:3]
	v_add_f64 v[4:5], v[60:61], v[64:65]
	v_add_f64 v[60:61], v[60:61], -v[64:65]
	v_mul_f64 v[64:65], v[62:63], s[24:25]
	v_fma_f64 v[66:67], v[4:5], s[22:23], -v[64:65]
	v_add_f64 v[10:11], v[66:67], v[10:11]
	v_mul_f64 v[66:67], v[60:61], s[24:25]
	v_fmac_f64_e32 v[64:65], s[22:23], v[4:5]
	v_fma_f64 v[68:69], s[22:23], v[6:7], v[66:67]
	v_add_f64 v[8:9], v[64:65], v[8:9]
	v_fma_f64 v[64:65], v[6:7], s[22:23], -v[66:67]
	v_mul_f64 v[66:67], v[62:63], s[18:19]
	v_add_f64 v[0:1], v[70:71], v[0:1]
	v_fma_f64 v[70:71], v[4:5], s[8:9], -v[66:67]
	v_fmac_f64_e32 v[66:67], s[8:9], v[4:5]
	v_add_f64 v[64:65], v[64:65], v[72:73]
	v_mul_f64 v[72:73], v[60:61], s[18:19]
	v_add_f64 v[66:67], v[66:67], v[74:75]
	v_mul_f64 v[74:75], v[62:63], s[30:31]
	v_add_f64 v[68:69], v[68:69], v[76:77]
	v_add_f64 v[70:71], v[70:71], v[78:79]
	v_fma_f64 v[76:77], s[8:9], v[6:7], v[72:73]
	v_fma_f64 v[72:73], v[6:7], s[8:9], -v[72:73]
	v_fma_f64 v[78:79], v[4:5], s[14:15], -v[74:75]
	v_fmac_f64_e32 v[74:75], s[14:15], v[4:5]
	v_add_f64 v[72:73], v[72:73], v[80:81]
	v_mul_f64 v[80:81], v[60:61], s[30:31]
	v_add_f64 v[74:75], v[74:75], v[82:83]
	v_mul_f64 v[82:83], v[62:63], s[42:43]
	v_add_f64 v[76:77], v[76:77], v[84:85]
	v_add_f64 v[78:79], v[78:79], v[86:87]
	v_fma_f64 v[84:85], s[14:15], v[6:7], v[80:81]
	v_fma_f64 v[80:81], v[6:7], s[14:15], -v[80:81]
	v_fma_f64 v[86:87], v[4:5], s[26:27], -v[82:83]
	v_fmac_f64_e32 v[82:83], s[26:27], v[4:5]
	v_add_f64 v[180:181], v[180:181], v[188:189]
	v_add_f64 v[80:81], v[80:81], v[88:89]
	v_mul_f64 v[88:89], v[60:61], s[42:43]
	v_add_f64 v[82:83], v[82:83], v[90:91]
	v_mul_f64 v[90:91], v[62:63], s[34:35]
	v_add_f64 v[172:173], v[172:173], v[180:181]
	v_add_f64 v[84:85], v[84:85], v[92:93]
	v_add_f64 v[86:87], v[86:87], v[94:95]
	v_fma_f64 v[92:93], s[26:27], v[6:7], v[88:89]
	v_fma_f64 v[88:89], v[6:7], s[26:27], -v[88:89]
	v_fma_f64 v[94:95], v[4:5], s[20:21], -v[90:91]
	v_fmac_f64_e32 v[90:91], s[20:21], v[4:5]
	v_mul_f64 v[62:63], v[62:63], s[16:17]
	v_add_f64 v[164:165], v[164:165], v[172:173]
	v_add_f64 v[88:89], v[88:89], v[96:97]
	v_mul_f64 v[96:97], v[60:61], s[34:35]
	v_add_f64 v[90:91], v[90:91], v[156:157]
	v_fma_f64 v[156:157], v[4:5], s[12:13], -v[62:63]
	v_mul_f64 v[60:61], v[60:61], s[16:17]
	v_add_f64 v[92:93], v[92:93], v[98:99]
	v_fma_f64 v[98:99], s[20:21], v[6:7], v[96:97]
	v_fma_f64 v[96:97], v[6:7], s[20:21], -v[96:97]
	v_add_f64 v[196:197], v[156:157], v[164:165]
	v_fma_f64 v[156:157], s[12:13], v[6:7], v[60:61]
	v_fmac_f64_e32 v[62:63], s[12:13], v[4:5]
	v_fma_f64 v[4:5], v[6:7], s[12:13], -v[60:61]
	v_add_f64 v[6:7], v[54:55], v[58:59]
	v_add_f64 v[54:55], v[54:55], -v[58:59]
	v_add_f64 v[182:183], v[182:183], v[190:191]
	v_add_f64 v[2:3], v[4:5], v[2:3]
	;; [unrolled: 1-line block ×3, first 2 shown]
	v_add_f64 v[52:53], v[52:53], -v[56:57]
	v_mul_f64 v[56:57], v[54:55], s[28:29]
	v_add_f64 v[174:175], v[174:175], v[182:183]
	v_fma_f64 v[58:59], v[4:5], s[26:27], -v[56:57]
	v_add_f64 v[166:167], v[166:167], v[174:175]
	v_add_f64 v[164:165], v[58:59], v[10:11]
	v_mul_f64 v[10:11], v[52:53], s[28:29]
	v_fmac_f64_e32 v[56:57], s[26:27], v[4:5]
	v_add_f64 v[198:199], v[156:157], v[166:167]
	v_add_f64 v[156:157], v[56:57], v[8:9]
	v_fma_f64 v[8:9], v[6:7], s[26:27], -v[10:11]
	v_add_f64 v[176:177], v[176:177], v[184:185]
	v_add_f64 v[94:95], v[94:95], v[158:159]
	;; [unrolled: 1-line block ×3, first 2 shown]
	v_mul_f64 v[8:9], v[54:55], s[34:35]
	v_add_f64 v[178:179], v[178:179], v[186:187]
	v_add_f64 v[168:169], v[168:169], v[176:177]
	v_fma_f64 v[58:59], s[26:27], v[6:7], v[10:11]
	v_fma_f64 v[10:11], v[4:5], s[20:21], -v[8:9]
	v_add_f64 v[170:171], v[170:171], v[178:179]
	v_add_f64 v[160:161], v[160:161], v[168:169]
	;; [unrolled: 1-line block ×3, first 2 shown]
	v_mul_f64 v[10:11], v[52:53], s[34:35]
	v_fmac_f64_e32 v[8:9], s[20:21], v[4:5]
	v_add_f64 v[162:163], v[162:163], v[170:171]
	v_add_f64 v[96:97], v[96:97], v[160:161]
	;; [unrolled: 1-line block ×3, first 2 shown]
	v_fma_f64 v[8:9], v[6:7], s[20:21], -v[10:11]
	v_add_f64 v[98:99], v[98:99], v[162:163]
	v_add_f64 v[162:163], v[8:9], v[72:73]
	v_mul_f64 v[8:9], v[54:55], s[24:25]
	v_fma_f64 v[56:57], s[20:21], v[6:7], v[10:11]
	v_fma_f64 v[10:11], v[4:5], s[22:23], -v[8:9]
	v_add_f64 v[180:181], v[10:11], v[78:79]
	v_mul_f64 v[10:11], v[52:53], s[24:25]
	v_fmac_f64_e32 v[8:9], s[22:23], v[4:5]
	v_add_f64 v[168:169], v[8:9], v[74:75]
	v_fma_f64 v[8:9], v[6:7], s[22:23], -v[10:11]
	v_add_f64 v[170:171], v[8:9], v[80:81]
	v_mul_f64 v[8:9], v[54:55], s[36:37]
	v_add_f64 v[174:175], v[56:57], v[76:77]
	v_fma_f64 v[56:57], s[22:23], v[6:7], v[10:11]
	v_fma_f64 v[10:11], v[4:5], s[14:15], -v[8:9]
	v_add_f64 v[184:185], v[10:11], v[86:87]
	v_mul_f64 v[10:11], v[52:53], s[36:37]
	v_fmac_f64_e32 v[8:9], s[14:15], v[4:5]
	v_add_f64 v[176:177], v[8:9], v[82:83]
	v_fma_f64 v[8:9], v[6:7], s[14:15], -v[10:11]
	v_add_f64 v[178:179], v[8:9], v[88:89]
	v_mul_f64 v[8:9], v[54:55], s[16:17]
	v_add_f64 v[182:183], v[56:57], v[84:85]
	;; [unrolled: 10-line block ×3, first 2 shown]
	v_fma_f64 v[56:57], s[12:13], v[6:7], v[10:11]
	v_fma_f64 v[10:11], v[4:5], s[8:9], -v[8:9]
	v_add_f64 v[0:1], v[62:63], v[0:1]
	v_add_f64 v[196:197], v[10:11], v[196:197]
	v_mul_f64 v[10:11], v[52:53], s[18:19]
	v_fmac_f64_e32 v[8:9], s[8:9], v[4:5]
	v_fma_f64 v[52:53], s[8:9], v[6:7], v[10:11]
	v_add_f64 v[200:201], v[8:9], v[0:1]
	v_fma_f64 v[0:1], v[6:7], s[8:9], -v[10:11]
	v_add_f64 v[4:5], v[104:105], -v[148:149]
	v_add_f64 v[6:7], v[106:107], -v[150:151]
	v_add_f64 v[166:167], v[58:59], v[68:69]
	v_add_f64 v[198:199], v[52:53], v[198:199]
	;; [unrolled: 1-line block ×5, first 2 shown]
	v_mul_f64 v[8:9], v[6:7], s[46:47]
	v_mul_f64 v[52:53], v[4:5], s[46:47]
	v_mul_f64 v[60:61], v[4:5], s[30:31]
	v_mul_f64 v[68:69], v[4:5], s[38:39]
	v_mul_f64 v[76:77], v[4:5], s[16:17]
	v_mul_f64 v[84:85], v[4:5], s[24:25]
	v_mul_f64 v[4:5], v[4:5], s[28:29]
	v_add_f64 v[94:95], v[110:111], -v[146:147]
	v_add_f64 v[194:195], v[56:57], v[98:99]
	v_fma_f64 v[10:11], v[0:1], s[20:21], -v[8:9]
	v_fma_f64 v[54:55], s[20:21], v[2:3], v[52:53]
	v_fma_f64 v[52:53], v[2:3], s[20:21], -v[52:53]
	v_mul_f64 v[56:57], v[6:7], s[30:31]
	v_fma_f64 v[62:63], s[14:15], v[2:3], v[60:61]
	v_fma_f64 v[60:61], v[2:3], s[14:15], -v[60:61]
	v_mul_f64 v[64:65], v[6:7], s[38:39]
	v_fma_f64 v[70:71], s[8:9], v[2:3], v[68:69]
	v_fma_f64 v[68:69], v[2:3], s[8:9], -v[68:69]
	v_mul_f64 v[72:73], v[6:7], s[16:17]
	v_fma_f64 v[78:79], s[12:13], v[2:3], v[76:77]
	v_fma_f64 v[76:77], v[2:3], s[12:13], -v[76:77]
	v_mul_f64 v[80:81], v[6:7], s[24:25]
	v_fma_f64 v[86:87], s[22:23], v[2:3], v[84:85]
	v_fma_f64 v[84:85], v[2:3], s[22:23], -v[84:85]
	v_mul_f64 v[6:7], v[6:7], s[28:29]
	v_fma_f64 v[90:91], s[26:27], v[2:3], v[4:5]
	v_fma_f64 v[2:3], v[2:3], s[26:27], -v[4:5]
	v_add_f64 v[4:5], v[108:109], v[144:145]
	v_mul_f64 v[96:97], v[94:95], s[30:31]
	v_add_f64 v[10:11], v[100:101], v[10:11]
	v_fmac_f64_e32 v[8:9], s[20:21], v[0:1]
	v_fma_f64 v[88:89], v[0:1], s[26:27], -v[6:7]
	v_fmac_f64_e32 v[6:7], s[26:27], v[0:1]
	v_add_f64 v[92:93], v[108:109], -v[144:145]
	v_fma_f64 v[98:99], v[4:5], s[14:15], -v[96:97]
	v_add_f64 v[8:9], v[100:101], v[8:9]
	v_fma_f64 v[58:59], v[0:1], s[14:15], -v[56:57]
	v_fmac_f64_e32 v[56:57], s[14:15], v[0:1]
	v_fma_f64 v[66:67], v[0:1], s[8:9], -v[64:65]
	v_fmac_f64_e32 v[64:65], s[8:9], v[0:1]
	;; [unrolled: 2-line block ×4, first 2 shown]
	v_add_f64 v[0:1], v[100:101], v[6:7]
	v_add_f64 v[6:7], v[110:111], v[146:147]
	v_add_f64 v[10:11], v[98:99], v[10:11]
	v_mul_f64 v[98:99], v[92:93], s[30:31]
	v_fmac_f64_e32 v[96:97], s[14:15], v[4:5]
	v_add_f64 v[52:53], v[102:103], v[52:53]
	v_add_f64 v[8:9], v[96:97], v[8:9]
	v_fma_f64 v[96:97], v[6:7], s[14:15], -v[98:99]
	v_add_f64 v[52:53], v[96:97], v[52:53]
	v_mul_f64 v[96:97], v[94:95], s[16:17]
	v_add_f64 v[58:59], v[100:101], v[58:59]
	v_fma_f64 v[208:209], s[14:15], v[6:7], v[98:99]
	v_fma_f64 v[98:99], v[4:5], s[12:13], -v[96:97]
	v_add_f64 v[56:57], v[100:101], v[56:57]
	v_add_f64 v[58:59], v[98:99], v[58:59]
	v_mul_f64 v[98:99], v[92:93], s[16:17]
	v_fmac_f64_e32 v[96:97], s[12:13], v[4:5]
	v_add_f64 v[60:61], v[102:103], v[60:61]
	v_add_f64 v[56:57], v[96:97], v[56:57]
	v_fma_f64 v[96:97], v[6:7], s[12:13], -v[98:99]
	v_add_f64 v[54:55], v[102:103], v[54:55]
	v_add_f64 v[60:61], v[96:97], v[60:61]
	v_mul_f64 v[96:97], v[94:95], s[28:29]
	v_add_f64 v[66:67], v[100:101], v[66:67]
	v_add_f64 v[54:55], v[208:209], v[54:55]
	v_fma_f64 v[208:209], s[12:13], v[6:7], v[98:99]
	v_fma_f64 v[98:99], v[4:5], s[26:27], -v[96:97]
	v_add_f64 v[64:65], v[100:101], v[64:65]
	v_add_f64 v[66:67], v[98:99], v[66:67]
	v_mul_f64 v[98:99], v[92:93], s[28:29]
	v_fmac_f64_e32 v[96:97], s[26:27], v[4:5]
	v_add_f64 v[68:69], v[102:103], v[68:69]
	v_add_f64 v[64:65], v[96:97], v[64:65]
	v_fma_f64 v[96:97], v[6:7], s[26:27], -v[98:99]
	v_add_f64 v[62:63], v[102:103], v[62:63]
	v_add_f64 v[68:69], v[96:97], v[68:69]
	v_mul_f64 v[96:97], v[94:95], s[40:41]
	v_add_f64 v[74:75], v[100:101], v[74:75]
	;; [unrolled: 14-line block ×3, first 2 shown]
	v_add_f64 v[70:71], v[208:209], v[70:71]
	v_fma_f64 v[208:209], s[22:23], v[6:7], v[98:99]
	v_fma_f64 v[98:99], v[4:5], s[8:9], -v[96:97]
	v_add_f64 v[80:81], v[100:101], v[80:81]
	v_add_f64 v[82:83], v[98:99], v[82:83]
	v_mul_f64 v[98:99], v[92:93], s[18:19]
	v_fmac_f64_e32 v[96:97], s[8:9], v[4:5]
	v_add_f64 v[84:85], v[102:103], v[84:85]
	v_add_f64 v[80:81], v[96:97], v[80:81]
	v_fma_f64 v[96:97], v[6:7], s[8:9], -v[98:99]
	v_mul_f64 v[94:95], v[94:95], s[34:35]
	v_add_f64 v[88:89], v[100:101], v[88:89]
	v_add_f64 v[84:85], v[96:97], v[84:85]
	v_fma_f64 v[96:97], v[4:5], s[20:21], -v[94:95]
	v_mul_f64 v[92:93], v[92:93], s[34:35]
	v_fmac_f64_e32 v[94:95], s[20:21], v[4:5]
	v_add_f64 v[90:91], v[102:103], v[90:91]
	v_add_f64 v[2:3], v[102:103], v[2:3]
	;; [unrolled: 1-line block ×3, first 2 shown]
	v_fma_f64 v[96:97], s[20:21], v[6:7], v[92:93]
	v_add_f64 v[0:1], v[94:95], v[0:1]
	v_fma_f64 v[4:5], v[6:7], s[20:21], -v[92:93]
	v_add_f64 v[94:95], v[114:115], -v[142:143]
	v_add_f64 v[78:79], v[102:103], v[78:79]
	v_add_f64 v[90:91], v[96:97], v[90:91]
	;; [unrolled: 1-line block ×4, first 2 shown]
	v_mul_f64 v[96:97], v[94:95], s[38:39]
	v_add_f64 v[78:79], v[208:209], v[78:79]
	v_fma_f64 v[208:209], s[8:9], v[6:7], v[98:99]
	v_add_f64 v[92:93], v[112:113], -v[140:141]
	v_fma_f64 v[98:99], v[4:5], s[8:9], -v[96:97]
	v_add_f64 v[6:7], v[114:115], v[142:143]
	v_add_f64 v[10:11], v[98:99], v[10:11]
	v_mul_f64 v[98:99], v[92:93], s[38:39]
	v_fmac_f64_e32 v[96:97], s[8:9], v[4:5]
	v_add_f64 v[8:9], v[96:97], v[8:9]
	v_fma_f64 v[96:97], v[6:7], s[8:9], -v[98:99]
	v_add_f64 v[86:87], v[102:103], v[86:87]
	v_add_f64 v[52:53], v[96:97], v[52:53]
	v_mul_f64 v[96:97], v[94:95], s[28:29]
	v_add_f64 v[86:87], v[208:209], v[86:87]
	v_fma_f64 v[208:209], s[8:9], v[6:7], v[98:99]
	v_fma_f64 v[98:99], v[4:5], s[26:27], -v[96:97]
	v_add_f64 v[58:59], v[98:99], v[58:59]
	v_mul_f64 v[98:99], v[92:93], s[28:29]
	v_fmac_f64_e32 v[96:97], s[26:27], v[4:5]
	v_add_f64 v[56:57], v[96:97], v[56:57]
	v_fma_f64 v[96:97], v[6:7], s[26:27], -v[98:99]
	v_add_f64 v[60:61], v[96:97], v[60:61]
	v_mul_f64 v[96:97], v[94:95], s[44:45]
	v_add_f64 v[54:55], v[208:209], v[54:55]
	v_fma_f64 v[208:209], s[26:27], v[6:7], v[98:99]
	v_fma_f64 v[98:99], v[4:5], s[12:13], -v[96:97]
	v_add_f64 v[66:67], v[98:99], v[66:67]
	v_mul_f64 v[98:99], v[92:93], s[44:45]
	v_fmac_f64_e32 v[96:97], s[12:13], v[4:5]
	v_add_f64 v[64:65], v[96:97], v[64:65]
	v_fma_f64 v[96:97], v[6:7], s[12:13], -v[98:99]
	;; [unrolled: 10-line block ×4, first 2 shown]
	v_mul_f64 v[94:95], v[94:95], s[24:25]
	v_add_f64 v[84:85], v[96:97], v[84:85]
	v_fma_f64 v[96:97], v[4:5], s[22:23], -v[94:95]
	v_mul_f64 v[92:93], v[92:93], s[24:25]
	v_fmac_f64_e32 v[94:95], s[22:23], v[4:5]
	v_add_f64 v[88:89], v[96:97], v[88:89]
	v_fma_f64 v[96:97], s[22:23], v[6:7], v[92:93]
	v_add_f64 v[0:1], v[94:95], v[0:1]
	v_fma_f64 v[4:5], v[6:7], s[22:23], -v[92:93]
	v_add_f64 v[94:95], v[118:119], -v[138:139]
	v_add_f64 v[90:91], v[96:97], v[90:91]
	v_add_f64 v[2:3], v[4:5], v[2:3]
	;; [unrolled: 1-line block ×3, first 2 shown]
	v_mul_f64 v[96:97], v[94:95], s[16:17]
	v_add_f64 v[78:79], v[208:209], v[78:79]
	v_fma_f64 v[208:209], s[14:15], v[6:7], v[98:99]
	v_add_f64 v[92:93], v[116:117], -v[136:137]
	v_fma_f64 v[98:99], v[4:5], s[12:13], -v[96:97]
	v_add_f64 v[6:7], v[118:119], v[138:139]
	v_add_f64 v[10:11], v[98:99], v[10:11]
	v_mul_f64 v[98:99], v[92:93], s[16:17]
	v_fmac_f64_e32 v[96:97], s[12:13], v[4:5]
	v_add_f64 v[8:9], v[96:97], v[8:9]
	v_fma_f64 v[96:97], v[6:7], s[12:13], -v[98:99]
	v_add_f64 v[52:53], v[96:97], v[52:53]
	v_mul_f64 v[96:97], v[94:95], s[40:41]
	v_add_f64 v[86:87], v[208:209], v[86:87]
	v_fma_f64 v[208:209], s[12:13], v[6:7], v[98:99]
	v_fma_f64 v[98:99], v[4:5], s[22:23], -v[96:97]
	v_add_f64 v[58:59], v[98:99], v[58:59]
	v_mul_f64 v[98:99], v[92:93], s[40:41]
	v_fmac_f64_e32 v[96:97], s[22:23], v[4:5]
	v_add_f64 v[56:57], v[96:97], v[56:57]
	v_fma_f64 v[96:97], v[6:7], s[22:23], -v[98:99]
	v_add_f64 v[60:61], v[96:97], v[60:61]
	v_mul_f64 v[96:97], v[94:95], s[34:35]
	v_add_f64 v[54:55], v[208:209], v[54:55]
	v_fma_f64 v[208:209], s[22:23], v[6:7], v[98:99]
	v_fma_f64 v[98:99], v[4:5], s[20:21], -v[96:97]
	;; [unrolled: 10-line block ×4, first 2 shown]
	v_add_f64 v[82:83], v[98:99], v[82:83]
	v_mul_f64 v[98:99], v[92:93], s[42:43]
	v_fmac_f64_e32 v[72:73], s[26:27], v[4:5]
	v_add_f64 v[210:211], v[72:73], v[80:81]
	v_fma_f64 v[72:73], v[6:7], s[26:27], -v[98:99]
	v_add_f64 v[78:79], v[208:209], v[78:79]
	v_fma_f64 v[208:209], s[26:27], v[6:7], v[98:99]
	v_add_f64 v[98:99], v[72:73], v[84:85]
	v_mul_f64 v[72:73], v[94:95], s[36:37]
	v_fma_f64 v[80:81], v[4:5], s[14:15], -v[72:73]
	v_add_f64 v[94:95], v[80:81], v[88:89]
	v_mul_f64 v[80:81], v[92:93], s[36:37]
	v_fmac_f64_e32 v[72:73], s[14:15], v[4:5]
	v_fma_f64 v[4:5], v[6:7], s[14:15], -v[80:81]
	v_add_f64 v[92:93], v[122:123], -v[134:135]
	v_add_f64 v[0:1], v[72:73], v[0:1]
	v_add_f64 v[2:3], v[4:5], v[2:3]
	;; [unrolled: 1-line block ×3, first 2 shown]
	v_mul_f64 v[72:73], v[92:93], s[24:25]
	v_fma_f64 v[84:85], s[14:15], v[6:7], v[80:81]
	v_add_f64 v[214:215], v[120:121], -v[132:133]
	v_fma_f64 v[80:81], v[4:5], s[22:23], -v[72:73]
	v_add_f64 v[6:7], v[122:123], v[134:135]
	v_add_f64 v[10:11], v[80:81], v[10:11]
	v_mul_f64 v[80:81], v[214:215], s[24:25]
	v_fmac_f64_e32 v[72:73], s[22:23], v[4:5]
	v_add_f64 v[8:9], v[72:73], v[8:9]
	v_fma_f64 v[72:73], v[6:7], s[22:23], -v[80:81]
	v_add_f64 v[218:219], v[72:73], v[52:53]
	v_mul_f64 v[52:53], v[92:93], s[18:19]
	v_fma_f64 v[72:73], v[4:5], s[8:9], -v[52:53]
	v_add_f64 v[58:59], v[72:73], v[58:59]
	v_mul_f64 v[72:73], v[214:215], s[18:19]
	v_fmac_f64_e32 v[52:53], s[8:9], v[4:5]
	v_add_f64 v[222:223], v[52:53], v[56:57]
	v_fma_f64 v[52:53], v[6:7], s[8:9], -v[72:73]
	v_add_f64 v[224:225], v[52:53], v[60:61]
	v_mul_f64 v[52:53], v[92:93], s[30:31]
	v_fma_f64 v[56:57], v[4:5], s[14:15], -v[52:53]
	v_add_f64 v[66:67], v[56:57], v[66:67]
	v_mul_f64 v[56:57], v[214:215], s[30:31]
	v_fmac_f64_e32 v[52:53], s[14:15], v[4:5]
	v_add_f64 v[228:229], v[52:53], v[64:65]
	v_fma_f64 v[52:53], v[6:7], s[14:15], -v[56:57]
	v_add_f64 v[230:231], v[52:53], v[68:69]
	v_mul_f64 v[52:53], v[92:93], s[42:43]
	v_fma_f64 v[60:61], s[14:15], v[6:7], v[56:57]
	v_fma_f64 v[56:57], v[4:5], s[26:27], -v[52:53]
	v_add_f64 v[212:213], v[84:85], v[90:91]
	v_fma_f64 v[84:85], s[22:23], v[6:7], v[80:81]
	v_fma_f64 v[80:81], s[8:9], v[6:7], v[72:73]
	v_add_f64 v[72:73], v[56:57], v[74:75]
	v_mul_f64 v[56:57], v[214:215], s[42:43]
	v_fmac_f64_e32 v[52:53], s[26:27], v[4:5]
	v_add_f64 v[54:55], v[84:85], v[54:55]
	v_add_f64 v[84:85], v[52:53], v[96:97]
	v_fma_f64 v[52:53], v[6:7], s[26:27], -v[56:57]
	v_add_f64 v[208:209], v[208:209], v[86:87]
	v_add_f64 v[86:87], v[52:53], v[76:77]
	v_mul_f64 v[52:53], v[92:93], s[34:35]
	v_add_f64 v[226:227], v[60:61], v[70:71]
	v_fma_f64 v[60:61], s[26:27], v[6:7], v[56:57]
	v_fma_f64 v[56:57], v[4:5], s[20:21], -v[52:53]
	v_add_f64 v[220:221], v[80:81], v[62:63]
	v_add_f64 v[80:81], v[56:57], v[82:83]
	v_mul_f64 v[56:57], v[214:215], s[34:35]
	v_fmac_f64_e32 v[52:53], s[20:21], v[4:5]
	v_add_f64 v[88:89], v[52:53], v[210:211]
	v_fma_f64 v[52:53], v[6:7], s[20:21], -v[56:57]
	v_add_f64 v[90:91], v[52:53], v[98:99]
	v_mul_f64 v[52:53], v[92:93], s[16:17]
	v_add_f64 v[74:75], v[60:61], v[78:79]
	v_fma_f64 v[60:61], s[20:21], v[6:7], v[56:57]
	v_fma_f64 v[56:57], v[4:5], s[12:13], -v[52:53]
	v_add_f64 v[92:93], v[56:57], v[94:95]
	v_mul_f64 v[56:57], v[214:215], s[16:17]
	v_fmac_f64_e32 v[52:53], s[12:13], v[4:5]
	v_add_f64 v[96:97], v[52:53], v[0:1]
	v_fma_f64 v[0:1], v[6:7], s[12:13], -v[56:57]
	v_add_f64 v[214:215], v[126:127], -v[130:131]
	v_add_f64 v[82:83], v[60:61], v[208:209]
	v_fma_f64 v[60:61], s[12:13], v[6:7], v[56:57]
	v_add_f64 v[98:99], v[0:1], v[2:3]
	v_add_f64 v[210:211], v[124:125], v[128:129]
	v_mul_f64 v[0:1], v[214:215], s[28:29]
	v_add_f64 v[94:95], v[60:61], v[212:213]
	v_add_f64 v[212:213], v[124:125], -v[128:129]
	v_fma_f64 v[2:3], v[210:211], s[26:27], -v[0:1]
	v_add_f64 v[208:209], v[126:127], v[130:131]
	v_add_f64 v[52:53], v[2:3], v[10:11]
	v_mul_f64 v[2:3], v[212:213], s[28:29]
	v_fmac_f64_e32 v[0:1], s[26:27], v[210:211]
	v_add_f64 v[60:61], v[0:1], v[8:9]
	v_fma_f64 v[0:1], v[208:209], s[26:27], -v[2:3]
	v_add_f64 v[62:63], v[0:1], v[218:219]
	v_mul_f64 v[0:1], v[214:215], s[34:35]
	v_fma_f64 v[4:5], s[26:27], v[208:209], v[2:3]
	v_fma_f64 v[2:3], v[210:211], s[20:21], -v[0:1]
	v_add_f64 v[56:57], v[2:3], v[58:59]
	v_mul_f64 v[2:3], v[212:213], s[34:35]
	v_fmac_f64_e32 v[0:1], s[20:21], v[210:211]
	v_add_f64 v[68:69], v[0:1], v[222:223]
	v_fma_f64 v[0:1], v[208:209], s[20:21], -v[2:3]
	v_add_f64 v[70:71], v[0:1], v[224:225]
	v_mul_f64 v[0:1], v[214:215], s[24:25]
	v_add_f64 v[54:55], v[4:5], v[54:55]
	v_fma_f64 v[4:5], s[20:21], v[208:209], v[2:3]
	v_fma_f64 v[2:3], v[210:211], s[22:23], -v[0:1]
	v_add_f64 v[64:65], v[2:3], v[66:67]
	v_mul_f64 v[2:3], v[212:213], s[24:25]
	v_fmac_f64_e32 v[0:1], s[22:23], v[210:211]
	v_add_f64 v[76:77], v[0:1], v[228:229]
	v_fma_f64 v[0:1], v[208:209], s[22:23], -v[2:3]
	v_add_f64 v[78:79], v[0:1], v[230:231]
	v_mul_f64 v[0:1], v[214:215], s[36:37]
	v_add_f64 v[58:59], v[4:5], v[220:221]
	;; [unrolled: 10-line block ×4, first 2 shown]
	v_fma_f64 v[4:5], s[12:13], v[208:209], v[2:3]
	v_fma_f64 v[2:3], v[210:211], s[8:9], -v[0:1]
	v_add_f64 v[92:93], v[2:3], v[92:93]
	v_mul_f64 v[2:3], v[212:213], s[18:19]
	v_fmac_f64_e32 v[0:1], s[8:9], v[210:211]
	v_add_f64 v[96:97], v[0:1], v[96:97]
	v_fma_f64 v[0:1], v[208:209], s[8:9], -v[2:3]
	v_add_f64 v[82:83], v[4:5], v[82:83]
	v_fma_f64 v[4:5], s[8:9], v[208:209], v[2:3]
	v_add_f64 v[98:99], v[0:1], v[98:99]
	v_mul_lo_u16_e32 v0, 13, v18
	v_lshl_add_u64 v[206:207], s[2:3], 0, v[204:205]
	v_add_f64 v[94:95], v[4:5], v[94:95]
	v_lshl_add_u32 v236, v0, 4, v233
	s_waitcnt lgkmcnt(0)
	; wave barrier
	ds_write_b128 v236, v[152:155]
	ds_write_b128 v236, v[164:167] offset:16
	ds_write_b128 v236, v[172:175] offset:32
	;; [unrolled: 1-line block ×12, first 2 shown]
	s_and_saveexec_b64 s[8:9], vcc
	s_cbranch_execz .LBB0_7
; %bb.6:
	v_add_f64 v[0:1], v[102:103], v[106:107]
	v_add_f64 v[0:1], v[0:1], v[110:111]
	;; [unrolled: 1-line block ×24, first 2 shown]
	ds_write_b128 v233, v[100:103] offset:2704
	ds_write_b128 v233, v[52:55] offset:2720
	;; [unrolled: 1-line block ×13, first 2 shown]
.LBB0_7:
	s_or_b64 exec, exec, s[8:9]
	v_add_u16_e32 v0, 26, v18
	s_movk_i32 s8, 0x4f
	v_mul_lo_u16_sdwa v1, v0, s8 dst_sel:DWORD dst_unused:UNUSED_PAD src0_sel:BYTE_0 src1_sel:DWORD
	v_lshrrev_b16_e32 v1, 10, v1
	v_mul_lo_u16_e32 v1, 13, v1
	v_sub_u16_e32 v0, v0, v1
	v_mov_b32_e32 v1, 4
	v_lshlrev_b32_sdwa v12, v1, v0 dst_sel:DWORD dst_unused:UNUSED_PAD src0_sel:DWORD src1_sel:BYTE_0
	v_add_u16_e32 v0, 39, v18
	v_mul_lo_u16_sdwa v2, v0, s8 dst_sel:DWORD dst_unused:UNUSED_PAD src0_sel:BYTE_0 src1_sel:DWORD
	v_lshrrev_b16_e32 v2, 10, v2
	v_mul_lo_u16_e32 v2, 13, v2
	v_sub_u16_e32 v0, v0, v2
	v_lshlrev_b32_sdwa v13, v1, v0 dst_sel:DWORD dst_unused:UNUSED_PAD src0_sel:DWORD src1_sel:BYTE_0
	v_add_u16_e32 v0, 52, v18
	v_mul_lo_u16_sdwa v2, v0, s8 dst_sel:DWORD dst_unused:UNUSED_PAD src0_sel:BYTE_0 src1_sel:DWORD
	v_lshrrev_b16_e32 v2, 10, v2
	v_mul_lo_u16_e32 v2, 13, v2
	v_sub_u16_e32 v0, v0, v2
	;; [unrolled: 6-line block ×3, first 2 shown]
	v_lshlrev_b32_sdwa v15, v1, v0 dst_sel:DWORD dst_unused:UNUSED_PAD src0_sel:DWORD src1_sel:BYTE_0
	v_add_u16_e32 v0, 0x4e, v18
	v_mul_lo_u16_sdwa v2, v0, s8 dst_sel:DWORD dst_unused:UNUSED_PAD src0_sel:BYTE_0 src1_sel:DWORD
	v_lshrrev_b16_e32 v2, 10, v2
	v_mul_lo_u16_e32 v2, 13, v2
	v_lshlrev_b32_e32 v200, 4, v18
	v_sub_u16_e32 v0, v0, v2
	s_waitcnt lgkmcnt(0)
	; wave barrier
	s_waitcnt lgkmcnt(0)
	global_load_dwordx4 v[104:107], v200, s[0:1]
	global_load_dwordx4 v[100:103], v12, s[0:1]
	v_lshlrev_b32_sdwa v16, v1, v0 dst_sel:DWORD dst_unused:UNUSED_PAD src0_sel:DWORD src1_sel:BYTE_0
	global_load_dwordx4 v[112:115], v13, s[0:1]
	global_load_dwordx4 v[108:111], v14, s[0:1]
	;; [unrolled: 1-line block ×4, first 2 shown]
	ds_read_b128 v[124:127], v235 offset:1456
	ds_read_b128 v[128:131], v235
	ds_read_b128 v[132:135], v235 offset:208
	ds_read_b128 v[136:139], v235 offset:1664
	;; [unrolled: 1-line block ×12, first 2 shown]
	s_movk_i32 s8, 0x60
	v_add_u32_e32 v38, v233, v12
	v_add_u32_e32 v39, v233, v13
	;; [unrolled: 1-line block ×5, first 2 shown]
	s_waitcnt lgkmcnt(0)
	; wave barrier
	s_waitcnt lgkmcnt(0)
	s_mov_b32 s14, 0xe976ee23
	s_mov_b32 s12, 0x429ad128
	s_mov_b32 s16, 0xaaaaaaaa
	s_mov_b32 s15, 0xbfe11646
	s_mov_b32 s13, 0x3febfeb5
	s_mov_b32 s17, 0xbff2aaaa
	s_mov_b32 s18, 0x5476071b
	s_mov_b32 s22, 0xb247c609
	s_mov_b32 s19, 0x3fe77f67
	s_mov_b32 s21, 0xbfe77f67
	s_mov_b32 s20, s18
	s_mov_b32 s23, 0x3fd5d0dc
	s_mov_b32 s27, 0xbfd5d0dc
	s_mov_b32 s26, s22
	s_mov_b32 s24, 0x37c3f68c
	s_mov_b32 s25, 0x3fdc38aa
	s_waitcnt vmcnt(5)
	v_mul_f64 v[0:1], v[126:127], v[106:107]
	v_mul_f64 v[2:3], v[124:125], v[106:107]
	;; [unrolled: 1-line block ×4, first 2 shown]
	v_fma_f64 v[0:1], v[124:125], v[104:105], -v[0:1]
	v_fmac_f64_e32 v[2:3], v[126:127], v[104:105]
	v_fma_f64 v[4:5], v[136:137], v[104:105], -v[4:5]
	v_fmac_f64_e32 v[6:7], v[138:139], v[104:105]
	v_add_f64 v[124:125], v[128:129], -v[0:1]
	v_add_f64 v[126:127], v[130:131], -v[2:3]
	;; [unrolled: 1-line block ×3, first 2 shown]
	s_waitcnt vmcnt(4)
	v_mul_f64 v[0:1], v[142:143], v[102:103]
	v_mul_f64 v[2:3], v[140:141], v[102:103]
	s_waitcnt vmcnt(3)
	v_mul_f64 v[4:5], v[154:155], v[114:115]
	v_mul_f64 v[8:9], v[152:153], v[114:115]
	;; [unrolled: 3-line block ×5, first 2 shown]
	v_fma_f64 v[0:1], v[140:141], v[100:101], -v[0:1]
	v_fmac_f64_e32 v[2:3], v[142:143], v[100:101]
	v_fma_f64 v[4:5], v[152:153], v[112:113], -v[4:5]
	v_fmac_f64_e32 v[8:9], v[154:155], v[112:113]
	;; [unrolled: 2-line block ×5, first 2 shown]
	v_add_f64 v[138:139], v[134:135], -v[6:7]
	v_add_f64 v[140:141], v[144:145], -v[0:1]
	;; [unrolled: 1-line block ×11, first 2 shown]
	v_mov_b64_e32 v[0:1], s[0:1]
	v_fma_f64 v[128:129], v[128:129], 2.0, -v[124:125]
	v_fma_f64 v[130:131], v[130:131], 2.0, -v[126:127]
	;; [unrolled: 1-line block ×14, first 2 shown]
	v_mad_u64_u32 v[0:1], s[0:1], v18, s8, v[0:1]
	ds_write_b128 v235, v[128:131]
	ds_write_b128 v235, v[124:127] offset:208
	ds_write_b128 v235, v[132:135] offset:416
	;; [unrolled: 1-line block ×13, first 2 shown]
	s_waitcnt lgkmcnt(0)
	; wave barrier
	s_waitcnt lgkmcnt(0)
	global_load_dwordx4 v[136:139], v[0:1], off offset:208
	global_load_dwordx4 v[132:135], v[0:1], off offset:224
	;; [unrolled: 1-line block ×12, first 2 shown]
	ds_read_b128 v[176:179], v235
	ds_read_b128 v[172:175], v235 offset:208
	ds_read_b128 v[180:183], v235 offset:416
	;; [unrolled: 1-line block ×13, first 2 shown]
	s_mov_b32 s8, 0x37e14327
	s_mov_b32 s0, 0x36b3c0b5
	;; [unrolled: 1-line block ×4, first 2 shown]
	s_waitcnt vmcnt(11) lgkmcnt(11)
	v_mul_f64 v[0:1], v[182:183], v[138:139]
	v_mul_f64 v[2:3], v[180:181], v[138:139]
	v_fma_f64 v[0:1], v[180:181], v[136:137], -v[0:1]
	s_waitcnt vmcnt(8) lgkmcnt(5)
	v_mul_f64 v[180:181], v[214:215], v[126:127]
	v_mul_f64 v[6:7], v[188:189], v[134:135]
	v_fmac_f64_e32 v[2:3], v[182:183], v[136:137]
	s_waitcnt vmcnt(5)
	v_mul_f64 v[202:203], v[186:187], v[162:163]
	v_fma_f64 v[180:181], v[212:213], v[124:125], -v[180:181]
	v_mul_f64 v[182:183], v[212:213], v[126:127]
	v_fma_f64 v[202:203], v[184:185], v[160:161], -v[202:203]
	v_mul_f64 v[212:213], v[184:185], v[162:163]
	s_waitcnt vmcnt(4)
	v_mul_f64 v[184:185], v[194:195], v[158:159]
	v_mul_f64 v[4:5], v[190:191], v[134:135]
	v_fmac_f64_e32 v[6:7], v[190:191], v[132:133]
	v_mul_f64 v[8:9], v[198:199], v[130:131]
	v_fmac_f64_e32 v[182:183], v[214:215], v[124:125]
	s_waitcnt lgkmcnt(3)
	v_mul_f64 v[190:191], v[222:223], v[146:147]
	v_fma_f64 v[214:215], v[192:193], v[156:157], -v[184:185]
	s_waitcnt vmcnt(3)
	v_mul_f64 v[184:185], v[210:211], v[154:155]
	v_fma_f64 v[4:5], v[188:189], v[132:133], -v[4:5]
	v_fma_f64 v[8:9], v[196:197], v[128:129], -v[8:9]
	v_mul_f64 v[10:11], v[196:197], v[130:131]
	v_mul_f64 v[188:189], v[224:225], v[146:147]
	v_fmac_f64_e32 v[190:191], v[224:225], v[144:145]
	s_waitcnt lgkmcnt(1)
	v_mul_f64 v[196:197], v[240:241], v[142:143]
	v_fma_f64 v[224:225], v[208:209], v[152:153], -v[184:185]
	s_waitcnt vmcnt(2)
	v_mul_f64 v[184:185], v[220:221], v[150:151]
	v_fmac_f64_e32 v[10:11], v[198:199], v[128:129]
	v_fma_f64 v[196:197], v[238:239], v[140:141], -v[196:197]
	v_mul_f64 v[198:199], v[238:239], v[142:143]
	v_fma_f64 v[238:239], v[218:219], v[148:149], -v[184:185]
	v_mul_f64 v[218:219], v[218:219], v[150:151]
	s_waitcnt vmcnt(1)
	v_mul_f64 v[184:185], v[228:229], v[170:171]
	v_fma_f64 v[188:189], v[222:223], v[144:145], -v[188:189]
	v_fmac_f64_e32 v[218:219], v[220:221], v[148:149]
	v_fma_f64 v[220:221], v[226:227], v[168:169], -v[184:185]
	v_mul_f64 v[226:227], v[226:227], v[170:171]
	s_waitcnt vmcnt(0) lgkmcnt(0)
	v_mul_f64 v[184:185], v[244:245], v[166:167]
	v_fmac_f64_e32 v[198:199], v[240:241], v[140:141]
	v_mul_f64 v[222:223], v[192:193], v[158:159]
	v_fmac_f64_e32 v[226:227], v[228:229], v[168:169]
	v_fma_f64 v[228:229], v[242:243], v[164:165], -v[184:185]
	v_add_f64 v[184:185], v[0:1], v[196:197]
	v_add_f64 v[192:193], v[4:5], v[188:189]
	v_fmac_f64_e32 v[212:213], v[186:187], v[160:161]
	v_fmac_f64_e32 v[222:223], v[194:195], v[156:157]
	v_add_f64 v[186:187], v[2:3], v[198:199]
	v_add_f64 v[194:195], v[6:7], v[190:191]
	v_add_f64 v[4:5], v[4:5], -v[188:189]
	v_add_f64 v[188:189], v[8:9], v[180:181]
	v_add_f64 v[8:9], v[180:181], -v[8:9]
	v_add_f64 v[180:181], v[192:193], v[184:185]
	v_add_f64 v[6:7], v[6:7], -v[190:191]
	v_add_f64 v[190:191], v[10:11], v[182:183]
	v_add_f64 v[10:11], v[182:183], -v[10:11]
	v_add_f64 v[182:183], v[194:195], v[186:187]
	v_add_f64 v[180:181], v[188:189], v[180:181]
	v_mul_f64 v[230:231], v[208:209], v[154:155]
	v_mul_f64 v[240:241], v[242:243], v[166:167]
	v_add_f64 v[0:1], v[0:1], -v[196:197]
	v_add_f64 v[2:3], v[2:3], -v[198:199]
	v_add_f64 v[182:183], v[190:191], v[182:183]
	v_add_f64 v[176:177], v[176:177], v[180:181]
	v_fmac_f64_e32 v[230:231], v[210:211], v[152:153]
	v_fmac_f64_e32 v[240:241], v[244:245], v[164:165]
	v_add_f64 v[196:197], v[192:193], -v[184:185]
	v_add_f64 v[198:199], v[194:195], -v[186:187]
	;; [unrolled: 1-line block ×6, first 2 shown]
	v_add_f64 v[208:209], v[8:9], v[4:5]
	v_add_f64 v[210:211], v[10:11], v[6:7]
	v_add_f64 v[242:243], v[8:9], -v[4:5]
	v_add_f64 v[244:245], v[10:11], -v[6:7]
	;; [unrolled: 1-line block ×4, first 2 shown]
	v_add_f64 v[178:179], v[178:179], v[182:183]
	v_mov_b64_e32 v[246:247], v[176:177]
	v_add_f64 v[8:9], v[0:1], -v[8:9]
	v_add_f64 v[10:11], v[2:3], -v[10:11]
	v_add_f64 v[0:1], v[208:209], v[0:1]
	v_add_f64 v[2:3], v[210:211], v[2:3]
	v_mul_f64 v[184:185], v[184:185], s[8:9]
	v_mul_f64 v[186:187], v[186:187], s[8:9]
	;; [unrolled: 1-line block ×8, first 2 shown]
	v_fmac_f64_e32 v[246:247], s[16:17], v[180:181]
	v_mov_b64_e32 v[180:181], v[178:179]
	v_fmac_f64_e32 v[180:181], s[16:17], v[182:183]
	v_fma_f64 v[182:183], v[196:197], s[18:19], -v[188:189]
	v_fma_f64 v[188:189], v[198:199], s[18:19], -v[190:191]
	;; [unrolled: 1-line block ×3, first 2 shown]
	v_fmac_f64_e32 v[184:185], s[0:1], v[192:193]
	v_fma_f64 v[192:193], v[198:199], s[20:21], -v[186:187]
	v_fma_f64 v[4:5], v[4:5], s[12:13], -v[210:211]
	v_fmac_f64_e32 v[210:211], s[22:23], v[8:9]
	v_fma_f64 v[6:7], v[6:7], s[12:13], -v[208:209]
	v_fmac_f64_e32 v[208:209], s[22:23], v[10:11]
	v_fma_f64 v[8:9], v[8:9], s[26:27], -v[242:243]
	v_fma_f64 v[10:11], v[10:11], s[26:27], -v[244:245]
	v_fmac_f64_e32 v[186:187], s[0:1], v[194:195]
	v_add_f64 v[242:243], v[184:185], v[246:247]
	v_add_f64 v[194:195], v[182:183], v[246:247]
	;; [unrolled: 1-line block ×5, first 2 shown]
	v_fmac_f64_e32 v[4:5], s[24:25], v[0:1]
	v_fmac_f64_e32 v[6:7], s[24:25], v[2:3]
	;; [unrolled: 1-line block ×4, first 2 shown]
	v_add_f64 v[244:245], v[186:187], v[180:181]
	v_fmac_f64_e32 v[210:211], s[24:25], v[0:1]
	v_add_f64 v[184:185], v[10:11], v[198:199]
	v_add_f64 v[186:187], v[246:247], -v[8:9]
	v_add_f64 v[188:189], v[194:195], -v[6:7]
	v_add_f64 v[190:191], v[4:5], v[196:197]
	v_add_f64 v[192:193], v[6:7], v[194:195]
	v_add_f64 v[194:195], v[196:197], -v[4:5]
	v_add_f64 v[196:197], v[198:199], -v[10:11]
	v_add_f64 v[198:199], v[8:9], v[246:247]
	v_add_f64 v[0:1], v[202:203], v[228:229]
	;; [unrolled: 1-line block ×3, first 2 shown]
	v_fmac_f64_e32 v[208:209], s[24:25], v[2:3]
	v_add_f64 v[2:3], v[212:213], v[240:241]
	v_add_f64 v[4:5], v[202:203], -v[228:229]
	v_add_f64 v[6:7], v[212:213], -v[240:241]
	v_add_f64 v[10:11], v[222:223], v[226:227]
	v_add_f64 v[202:203], v[214:215], -v[220:221]
	v_add_f64 v[212:213], v[222:223], -v[226:227]
	v_add_f64 v[214:215], v[224:225], v[238:239]
	v_add_f64 v[222:223], v[238:239], -v[224:225]
	v_add_f64 v[224:225], v[8:9], v[0:1]
	v_add_f64 v[220:221], v[230:231], v[218:219]
	v_add_f64 v[218:219], v[218:219], -v[230:231]
	v_add_f64 v[226:227], v[10:11], v[2:3]
	v_add_f64 v[224:225], v[214:215], v[224:225]
	;; [unrolled: 1-line block ×3, first 2 shown]
	v_add_f64 v[182:183], v[244:245], -v[210:211]
	v_add_f64 v[208:209], v[242:243], -v[208:209]
	v_add_f64 v[210:211], v[210:211], v[244:245]
	v_add_f64 v[230:231], v[10:11], -v[2:3]
	v_add_f64 v[2:3], v[2:3], -v[220:221]
	;; [unrolled: 1-line block ×3, first 2 shown]
	v_add_f64 v[240:241], v[218:219], v[212:213]
	v_add_f64 v[242:243], v[222:223], -v[202:203]
	v_add_f64 v[244:245], v[218:219], -v[212:213]
	;; [unrolled: 1-line block ×3, first 2 shown]
	v_add_f64 v[220:221], v[220:221], v[226:227]
	v_add_f64 v[212:213], v[172:173], v[224:225]
	v_add_f64 v[228:229], v[8:9], -v[0:1]
	v_add_f64 v[0:1], v[0:1], -v[214:215]
	;; [unrolled: 1-line block ×3, first 2 shown]
	v_add_f64 v[238:239], v[222:223], v[202:203]
	v_add_f64 v[202:203], v[202:203], -v[4:5]
	v_add_f64 v[214:215], v[174:175], v[220:221]
	v_mul_f64 v[226:227], v[242:243], s[14:15]
	v_mov_b64_e32 v[242:243], v[212:213]
	v_add_f64 v[222:223], v[4:5], -v[222:223]
	v_add_f64 v[218:219], v[6:7], -v[218:219]
	v_add_f64 v[4:5], v[238:239], v[4:5]
	v_add_f64 v[6:7], v[240:241], v[6:7]
	v_mul_f64 v[0:1], v[0:1], s[8:9]
	v_mul_f64 v[2:3], v[2:3], s[8:9]
	;; [unrolled: 1-line block ×7, first 2 shown]
	v_fmac_f64_e32 v[242:243], s[16:17], v[224:225]
	v_mov_b64_e32 v[224:225], v[214:215]
	v_fmac_f64_e32 v[224:225], s[16:17], v[220:221]
	v_fma_f64 v[8:9], s[0:1], v[8:9], v[0:1]
	v_fma_f64 v[172:173], v[228:229], s[18:19], -v[172:173]
	v_fma_f64 v[174:175], v[230:231], s[18:19], -v[174:175]
	;; [unrolled: 1-line block ×4, first 2 shown]
	v_fmac_f64_e32 v[2:3], s[0:1], v[10:11]
	v_fma_f64 v[10:11], s[22:23], v[222:223], v[226:227]
	v_fma_f64 v[202:203], v[202:203], s[12:13], -v[226:227]
	v_fma_f64 v[230:231], v[246:247], s[12:13], -v[248:249]
	v_fmac_f64_e32 v[248:249], s[22:23], v[218:219]
	v_fma_f64 v[244:245], v[222:223], s[26:27], -v[238:239]
	v_fma_f64 v[246:247], v[218:219], s[26:27], -v[240:241]
	v_add_f64 v[8:9], v[8:9], v[242:243]
	v_add_f64 v[2:3], v[2:3], v[224:225]
	;; [unrolled: 1-line block ×6, first 2 shown]
	v_fmac_f64_e32 v[10:11], s[24:25], v[4:5]
	v_fmac_f64_e32 v[248:249], s[24:25], v[6:7]
	;; [unrolled: 1-line block ×6, first 2 shown]
	v_add_f64 v[218:219], v[248:249], v[8:9]
	v_add_f64 v[220:221], v[2:3], -v[10:11]
	v_add_f64 v[222:223], v[246:247], v[0:1]
	v_add_f64 v[224:225], v[250:251], -v[244:245]
	v_add_f64 v[226:227], v[172:173], -v[230:231]
	v_add_f64 v[228:229], v[202:203], v[174:175]
	v_add_f64 v[238:239], v[230:231], v[172:173]
	v_add_f64 v[240:241], v[174:175], -v[202:203]
	v_add_f64 v[242:243], v[0:1], -v[246:247]
	v_add_f64 v[244:245], v[244:245], v[250:251]
	v_add_f64 v[172:173], v[8:9], -v[248:249]
	v_add_f64 v[174:175], v[10:11], v[2:3]
	ds_write_b128 v235, v[176:179]
	ds_write_b128 v235, v[180:183] offset:416
	ds_write_b128 v235, v[184:187] offset:832
	;; [unrolled: 1-line block ×6, first 2 shown]
	v_lshl_add_u32 v208, v216, 4, v204
	ds_write_b128 v235, v[212:215] offset:208
	ds_write_b128 v208, v[218:221] offset:624
	;; [unrolled: 1-line block ×7, first 2 shown]
	s_waitcnt lgkmcnt(0)
	; wave barrier
	s_waitcnt lgkmcnt(0)
	global_load_dwordx4 v[176:179], v[206:207], off offset:2912
	s_add_u32 s0, s2, 0xb60
	s_addc_u32 s1, s3, 0
	global_load_dwordx4 v[180:183], v200, s[0:1] offset:224
	global_load_dwordx4 v[184:187], v200, s[0:1] offset:448
	;; [unrolled: 1-line block ×12, first 2 shown]
	ds_read_b128 v[242:245], v235
	ds_read_b128 v[246:249], v235 offset:224
	s_waitcnt vmcnt(12) lgkmcnt(1)
	v_mul_f64 v[0:1], v[244:245], v[178:179]
	v_mul_f64 v[252:253], v[242:243], v[178:179]
	v_fma_f64 v[250:251], v[242:243], v[176:177], -v[0:1]
	v_fmac_f64_e32 v[252:253], v[244:245], v[176:177]
	ds_read_b128 v[242:245], v235 offset:448
	s_waitcnt vmcnt(11) lgkmcnt(1)
	v_mul_f64 v[0:1], v[248:249], v[182:183]
	v_mul_f64 v[178:179], v[246:247], v[182:183]
	v_fma_f64 v[176:177], v[246:247], v[180:181], -v[0:1]
	v_fmac_f64_e32 v[178:179], v[248:249], v[180:181]
	ds_write_b128 v235, v[176:179] offset:224
	ds_read_b128 v[176:179], v235 offset:672
	s_waitcnt vmcnt(10) lgkmcnt(2)
	v_mul_f64 v[0:1], v[244:245], v[186:187]
	v_mul_f64 v[182:183], v[242:243], v[186:187]
	v_fma_f64 v[180:181], v[242:243], v[184:185], -v[0:1]
	v_fmac_f64_e32 v[182:183], v[244:245], v[184:185]
	ds_read_b128 v[184:187], v235 offset:896
	ds_write_b128 v235, v[180:183] offset:448
	s_waitcnt vmcnt(9) lgkmcnt(2)
	v_mul_f64 v[0:1], v[178:179], v[190:191]
	v_mul_f64 v[182:183], v[176:177], v[190:191]
	v_fma_f64 v[180:181], v[176:177], v[188:189], -v[0:1]
	v_fmac_f64_e32 v[182:183], v[178:179], v[188:189]
	ds_read_b128 v[176:179], v235 offset:1120
	ds_write_b128 v235, v[180:183] offset:672
	;; [unrolled: 7-line block ×8, first 2 shown]
	s_waitcnt vmcnt(2) lgkmcnt(3)
	v_mul_f64 v[0:1], v[186:187], v[224:225]
	v_mul_f64 v[182:183], v[184:185], v[224:225]
	v_fma_f64 v[180:181], v[184:185], v[222:223], -v[0:1]
	v_fmac_f64_e32 v[182:183], v[186:187], v[222:223]
	ds_write_b128 v235, v[180:183] offset:2240
	ds_read_b128 v[180:183], v235 offset:2688
	s_waitcnt vmcnt(1) lgkmcnt(3)
	v_mul_f64 v[0:1], v[178:179], v[228:229]
	v_mul_f64 v[186:187], v[176:177], v[228:229]
	v_fma_f64 v[184:185], v[176:177], v[226:227], -v[0:1]
	v_fmac_f64_e32 v[186:187], v[178:179], v[226:227]
	s_waitcnt vmcnt(0) lgkmcnt(0)
	v_mul_f64 v[0:1], v[182:183], v[240:241]
	v_mul_f64 v[178:179], v[180:181], v[240:241]
	v_fma_f64 v[176:177], v[180:181], v[238:239], -v[0:1]
	v_fmac_f64_e32 v[178:179], v[182:183], v[238:239]
	ds_write_b128 v235, v[250:253]
	ds_write_b128 v235, v[184:187] offset:2464
	ds_write_b128 v235, v[176:179] offset:2688
	s_and_saveexec_b64 s[0:1], vcc
	s_cbranch_execz .LBB0_9
; %bb.8:
	s_load_dwordx4 s[12:15], s[2:3], 0xc30
	ds_read_b128 v[176:179], v233 offset:208
	ds_read_b128 v[180:183], v233 offset:432
	s_load_dwordx4 s[16:19], s[2:3], 0xd10
	s_waitcnt lgkmcnt(0)
	v_mul_f64 v[0:1], v[178:179], s[14:15]
	v_mul_f64 v[186:187], v[176:177], s[14:15]
	v_fma_f64 v[184:185], v[176:177], s[12:13], -v[0:1]
	v_fmac_f64_e32 v[186:187], s[12:13], v[178:179]
	s_load_dwordx4 s[12:15], s[2:3], 0xdf0
	ds_write_b128 v233, v[184:187] offset:208
	ds_read_b128 v[184:187], v233 offset:656
	v_mul_f64 v[0:1], v[182:183], s[18:19]
	v_mul_f64 v[178:179], v[180:181], s[18:19]
	v_fma_f64 v[176:177], v[180:181], s[16:17], -v[0:1]
	v_fmac_f64_e32 v[178:179], s[16:17], v[182:183]
	ds_write_b128 v233, v[176:179] offset:432
	ds_read_b128 v[176:179], v233 offset:880
	s_load_dwordx4 s[16:19], s[2:3], 0xed0
	s_waitcnt lgkmcnt(0)
	v_mul_f64 v[0:1], v[186:187], s[14:15]
	v_mul_f64 v[182:183], v[184:185], s[14:15]
	v_fma_f64 v[180:181], v[184:185], s[12:13], -v[0:1]
	v_fmac_f64_e32 v[182:183], s[12:13], v[186:187]
	s_load_dwordx4 s[12:15], s[2:3], 0xfb0
	ds_read_b128 v[184:187], v233 offset:1104
	ds_write_b128 v233, v[180:183] offset:656
	v_mul_f64 v[0:1], v[178:179], s[18:19]
	v_mul_f64 v[182:183], v[176:177], s[18:19]
	v_fma_f64 v[180:181], v[176:177], s[16:17], -v[0:1]
	v_fmac_f64_e32 v[182:183], s[16:17], v[178:179]
	ds_read_b128 v[176:179], v233 offset:1328
	s_load_dwordx4 s[16:19], s[2:3], 0x1090
	ds_write_b128 v233, v[180:183] offset:880
	s_waitcnt lgkmcnt(0)
	v_mul_f64 v[0:1], v[186:187], s[14:15]
	v_mul_f64 v[182:183], v[184:185], s[14:15]
	v_fma_f64 v[180:181], v[184:185], s[12:13], -v[0:1]
	v_fmac_f64_e32 v[182:183], s[12:13], v[186:187]
	s_load_dwordx4 s[12:15], s[2:3], 0x1170
	ds_read_b128 v[184:187], v233 offset:1552
	ds_write_b128 v233, v[180:183] offset:1104
	v_mul_f64 v[0:1], v[178:179], s[18:19]
	v_mul_f64 v[182:183], v[176:177], s[18:19]
	v_fma_f64 v[180:181], v[176:177], s[16:17], -v[0:1]
	v_fmac_f64_e32 v[182:183], s[16:17], v[178:179]
	ds_read_b128 v[176:179], v233 offset:1776
	s_load_dwordx4 s[16:19], s[2:3], 0x1250
	ds_write_b128 v233, v[180:183] offset:1328
	;; [unrolled: 15-line block ×3, first 2 shown]
	s_waitcnt lgkmcnt(0)
	v_mul_f64 v[0:1], v[186:187], s[14:15]
	v_mul_f64 v[182:183], v[184:185], s[14:15]
	v_fma_f64 v[180:181], v[184:185], s[12:13], -v[0:1]
	v_fmac_f64_e32 v[182:183], s[12:13], v[186:187]
	s_load_dwordx4 s[12:15], s[2:3], 0x14f0
	ds_read_b128 v[184:187], v233 offset:2448
	ds_write_b128 v233, v[180:183] offset:2000
	v_mul_f64 v[0:1], v[178:179], s[18:19]
	v_mul_f64 v[182:183], v[176:177], s[18:19]
	v_fma_f64 v[180:181], v[176:177], s[16:17], -v[0:1]
	v_fmac_f64_e32 v[182:183], s[16:17], v[178:179]
	ds_read_b128 v[176:179], v233 offset:2672
	ds_write_b128 v233, v[180:183] offset:2224
	s_waitcnt lgkmcnt(0)
	v_mul_f64 v[0:1], v[186:187], s[14:15]
	v_mul_f64 v[182:183], v[184:185], s[14:15]
	s_load_dwordx4 s[16:19], s[2:3], 0x15d0
	v_fma_f64 v[180:181], v[184:185], s[12:13], -v[0:1]
	v_fmac_f64_e32 v[182:183], s[12:13], v[186:187]
	s_load_dwordx4 s[12:15], s[2:3], 0x16b0
	ds_write_b128 v233, v[180:183] offset:2448
	ds_read_b128 v[180:183], v233 offset:2896
	s_waitcnt lgkmcnt(0)
	v_mul_f64 v[0:1], v[178:179], s[18:19]
	v_mul_f64 v[186:187], v[176:177], s[18:19]
	v_fma_f64 v[184:185], v[176:177], s[16:17], -v[0:1]
	v_fmac_f64_e32 v[186:187], s[16:17], v[178:179]
	v_mul_f64 v[0:1], v[182:183], s[14:15]
	v_mul_f64 v[178:179], v[180:181], s[14:15]
	v_fma_f64 v[176:177], v[180:181], s[12:13], -v[0:1]
	v_fmac_f64_e32 v[178:179], s[12:13], v[182:183]
	ds_write_b128 v233, v[184:187] offset:2672
	ds_write_b128 v233, v[176:179] offset:2896
.LBB0_9:
	s_or_b64 exec, exec, s[0:1]
	s_waitcnt lgkmcnt(0)
	; wave barrier
	s_waitcnt lgkmcnt(0)
	ds_read_b128 v[216:219], v235
	ds_read_b128 v[224:227], v235 offset:224
	ds_read_b128 v[212:215], v235 offset:448
	;; [unrolled: 1-line block ×12, first 2 shown]
	s_and_saveexec_b64 s[0:1], vcc
	s_cbranch_execz .LBB0_11
; %bb.10:
	ds_read_b128 v[172:175], v233 offset:208
	ds_read_b128 v[52:55], v233 offset:432
	;; [unrolled: 1-line block ×13, first 2 shown]
.LBB0_11:
	s_or_b64 exec, exec, s[0:1]
	s_waitcnt lgkmcnt(11)
	v_add_f64 v[2:3], v[218:219], v[226:227]
	s_waitcnt lgkmcnt(10)
	v_add_f64 v[2:3], v[2:3], v[214:215]
	v_add_f64 v[0:1], v[216:217], v[224:225]
	s_waitcnt lgkmcnt(9)
	v_add_f64 v[2:3], v[2:3], v[202:203]
	;; [unrolled: 3-line block ×10, first 2 shown]
	s_mov_b32 s18, 0xb2365da1
	v_add_f64 v[0:1], v[0:1], v[204:205]
	s_waitcnt lgkmcnt(0)
	v_add_f64 v[210:211], v[2:3], v[230:231]
	v_add_f64 v[2:3], v[226:227], v[230:231]
	s_mov_b32 s0, 0xe00740e9
	s_mov_b32 s8, 0x1ea71119
	;; [unrolled: 1-line block ×7, first 2 shown]
	v_add_f64 v[0:1], v[0:1], v[220:221]
	v_add_f64 v[4:5], v[224:225], -v[228:229]
	v_add_f64 v[6:7], v[226:227], -v[230:231]
	s_mov_b32 s12, 0x4267c47c
	s_mov_b32 s1, 0x3fec55a7
	;; [unrolled: 1-line block ×7, first 2 shown]
	v_mul_f64 v[254:255], v[2:3], s[18:19]
	s_mov_b32 s41, 0x3fedeba7
	s_mov_b32 s40, s24
	s_mov_b32 s30, 0x24c2f84
	s_mov_b32 s23, 0xbfe7f3cc
	s_mov_b32 s34, 0x4bc48dbf
	s_mov_b32 s29, 0xbfef11f4
	v_accvgpr_write_b32 a0, v18
	v_add_u32_e32 v232, 0xd0, v208
	v_add_f64 v[208:209], v[0:1], v[228:229]
	v_add_f64 v[0:1], v[224:225], v[228:229]
	s_mov_b32 s13, 0xbfddbe06
	v_mul_f64 v[224:225], v[2:3], s[0:1]
	s_mov_b32 s27, 0x3fddbe06
	s_mov_b32 s26, s12
	s_mov_b32 s17, 0xbfea55e2
	v_mul_f64 v[238:239], v[2:3], s[8:9]
	s_mov_b32 s43, 0x3fea55e2
	s_mov_b32 s42, s16
	;; [unrolled: 4-line block ×3, first 2 shown]
	v_mul_f64 v[250:251], v[6:7], s[24:25]
	v_fma_f64 v[12:13], s[40:41], v[4:5], v[254:255]
	v_fmac_f64_e32 v[254:255], s[24:25], v[4:5]
	s_mov_b32 s31, 0xbfe5384d
	v_mul_f64 v[18:19], v[2:3], s[22:23]
	s_mov_b32 s39, 0x3fe5384d
	s_mov_b32 s38, s30
	;; [unrolled: 1-line block ×3, first 2 shown]
	v_mul_f64 v[2:3], v[2:3], s[28:29]
	s_mov_b32 s45, 0x3fcea1e5
	s_mov_b32 s44, s34
	v_mul_f64 v[8:9], v[6:7], s[12:13]
	v_fma_f64 v[226:227], s[26:27], v[4:5], v[224:225]
	v_fmac_f64_e32 v[224:225], s[12:13], v[4:5]
	v_mul_f64 v[228:229], v[6:7], s[16:17]
	v_fma_f64 v[240:241], s[42:43], v[4:5], v[238:239]
	v_fmac_f64_e32 v[238:239], s[16:17], v[4:5]
	;; [unrolled: 3-line block ×3, first 2 shown]
	v_fma_f64 v[252:253], s[18:19], v[0:1], v[250:251]
	v_fma_f64 v[14:15], v[0:1], s[18:19], -v[250:251]
	v_add_f64 v[250:251], v[218:219], v[254:255]
	v_mul_f64 v[254:255], v[6:7], s[30:31]
	v_fma_f64 v[20:21], s[38:39], v[4:5], v[18:19]
	v_fmac_f64_e32 v[18:19], s[30:31], v[4:5]
	v_mul_f64 v[6:7], v[6:7], s[34:35]
	v_fma_f64 v[24:25], s[44:45], v[4:5], v[2:3]
	v_fmac_f64_e32 v[2:3], s[34:35], v[4:5]
	v_add_f64 v[4:5], v[212:213], v[220:221]
	v_add_f64 v[26:27], v[212:213], -v[220:221]
	v_add_f64 v[212:213], v[214:215], -v[222:223]
	v_fma_f64 v[10:11], s[0:1], v[0:1], v[8:9]
	v_fma_f64 v[8:9], v[0:1], s[0:1], -v[8:9]
	v_fma_f64 v[230:231], s[8:9], v[0:1], v[228:229]
	v_fma_f64 v[228:229], v[0:1], s[8:9], -v[228:229]
	;; [unrolled: 2-line block ×5, first 2 shown]
	v_add_f64 v[6:7], v[214:215], v[222:223]
	v_mul_f64 v[214:215], v[212:213], s[16:17]
	v_add_f64 v[10:11], v[216:217], v[10:11]
	v_add_f64 v[8:9], v[216:217], v[8:9]
	;; [unrolled: 1-line block ×12, first 2 shown]
	v_fma_f64 v[216:217], s[8:9], v[4:5], v[214:215]
	v_add_f64 v[10:11], v[216:217], v[10:11]
	v_mul_f64 v[216:217], v[6:7], s[8:9]
	v_add_f64 v[226:227], v[218:219], v[226:227]
	v_add_f64 v[224:225], v[218:219], v[224:225]
	;; [unrolled: 1-line block ×11, first 2 shown]
	v_fma_f64 v[218:219], s[42:43], v[26:27], v[216:217]
	v_fma_f64 v[214:215], v[4:5], s[8:9], -v[214:215]
	v_fmac_f64_e32 v[216:217], s[16:17], v[26:27]
	v_add_f64 v[8:9], v[214:215], v[8:9]
	v_add_f64 v[214:215], v[216:217], v[224:225]
	v_mul_f64 v[216:217], v[212:213], s[24:25]
	v_add_f64 v[218:219], v[218:219], v[226:227]
	v_fma_f64 v[220:221], s[18:19], v[4:5], v[216:217]
	v_mul_f64 v[222:223], v[6:7], s[18:19]
	v_fma_f64 v[216:217], v[4:5], s[18:19], -v[216:217]
	v_mul_f64 v[226:227], v[212:213], s[34:35]
	v_add_f64 v[220:221], v[220:221], v[230:231]
	v_fma_f64 v[224:225], s[40:41], v[26:27], v[222:223]
	v_add_f64 v[216:217], v[216:217], v[228:229]
	v_fmac_f64_e32 v[222:223], s[24:25], v[26:27]
	v_fma_f64 v[228:229], s[28:29], v[4:5], v[226:227]
	v_mul_f64 v[230:231], v[6:7], s[28:29]
	v_add_f64 v[224:225], v[224:225], v[240:241]
	v_add_f64 v[222:223], v[222:223], v[238:239]
	;; [unrolled: 1-line block ×3, first 2 shown]
	v_fma_f64 v[238:239], s[44:45], v[26:27], v[230:231]
	v_fma_f64 v[226:227], v[4:5], s[28:29], -v[226:227]
	v_fmac_f64_e32 v[230:231], s[34:35], v[26:27]
	v_mul_f64 v[240:241], v[212:213], s[38:39]
	v_mul_f64 v[244:245], v[6:7], s[22:23]
	v_add_f64 v[226:227], v[226:227], v[242:243]
	v_add_f64 v[230:231], v[230:231], v[246:247]
	v_fma_f64 v[242:243], s[22:23], v[4:5], v[240:241]
	v_fma_f64 v[246:247], s[30:31], v[26:27], v[244:245]
	v_fma_f64 v[240:241], v[4:5], s[22:23], -v[240:241]
	v_fmac_f64_e32 v[244:245], s[38:39], v[26:27]
	v_add_f64 v[14:15], v[240:241], v[14:15]
	v_add_f64 v[240:241], v[244:245], v[250:251]
	v_mul_f64 v[244:245], v[212:213], s[36:37]
	v_add_f64 v[12:13], v[246:247], v[12:13]
	v_fma_f64 v[246:247], s[14:15], v[4:5], v[244:245]
	v_add_f64 v[16:17], v[246:247], v[16:17]
	v_mul_f64 v[246:247], v[6:7], s[14:15]
	v_fma_f64 v[244:245], v[4:5], s[14:15], -v[244:245]
	v_mul_f64 v[212:213], v[212:213], s[26:27]
	v_add_f64 v[238:239], v[238:239], v[248:249]
	v_fma_f64 v[248:249], s[20:21], v[26:27], v[246:247]
	v_add_f64 v[22:23], v[244:245], v[22:23]
	v_fmac_f64_e32 v[246:247], s[36:37], v[26:27]
	v_fma_f64 v[244:245], s[0:1], v[4:5], v[212:213]
	v_mul_f64 v[6:7], v[6:7], s[0:1]
	v_fma_f64 v[4:5], v[4:5], s[0:1], -v[212:213]
	v_add_f64 v[18:19], v[246:247], v[18:19]
	v_fma_f64 v[246:247], s[12:13], v[26:27], v[6:7]
	v_add_f64 v[0:1], v[4:5], v[0:1]
	v_fmac_f64_e32 v[6:7], s[26:27], v[26:27]
	v_add_f64 v[4:5], v[200:201], v[204:205]
	v_add_f64 v[26:27], v[200:201], -v[204:205]
	v_add_f64 v[200:201], v[202:203], -v[206:207]
	v_add_f64 v[2:3], v[6:7], v[2:3]
	v_add_f64 v[6:7], v[202:203], v[206:207]
	v_mul_f64 v[202:203], v[200:201], s[20:21]
	v_fma_f64 v[204:205], s[14:15], v[4:5], v[202:203]
	v_add_f64 v[10:11], v[204:205], v[10:11]
	v_mul_f64 v[204:205], v[6:7], s[14:15]
	v_fma_f64 v[206:207], s[36:37], v[26:27], v[204:205]
	v_fma_f64 v[202:203], v[4:5], s[14:15], -v[202:203]
	v_fmac_f64_e32 v[204:205], s[20:21], v[26:27]
	v_add_f64 v[8:9], v[202:203], v[8:9]
	v_add_f64 v[202:203], v[204:205], v[214:215]
	v_mul_f64 v[204:205], v[200:201], s[34:35]
	v_mul_f64 v[214:215], v[6:7], s[28:29]
	v_add_f64 v[206:207], v[206:207], v[218:219]
	v_fma_f64 v[212:213], s[28:29], v[4:5], v[204:205]
	v_fma_f64 v[218:219], s[44:45], v[26:27], v[214:215]
	v_fma_f64 v[204:205], v[4:5], s[28:29], -v[204:205]
	v_fmac_f64_e32 v[214:215], s[34:35], v[26:27]
	v_add_f64 v[204:205], v[204:205], v[216:217]
	v_add_f64 v[214:215], v[214:215], v[222:223]
	v_mul_f64 v[216:217], v[200:201], s[40:41]
	v_mul_f64 v[222:223], v[6:7], s[18:19]
	v_add_f64 v[212:213], v[212:213], v[220:221]
	v_add_f64 v[218:219], v[218:219], v[224:225]
	v_fma_f64 v[220:221], s[18:19], v[4:5], v[216:217]
	v_fma_f64 v[224:225], s[24:25], v[26:27], v[222:223]
	v_fma_f64 v[216:217], v[4:5], s[18:19], -v[216:217]
	v_fmac_f64_e32 v[222:223], s[40:41], v[26:27]
	v_add_f64 v[216:217], v[216:217], v[226:227]
	v_add_f64 v[222:223], v[222:223], v[230:231]
	v_mul_f64 v[226:227], v[200:201], s[26:27]
	v_mul_f64 v[230:231], v[6:7], s[0:1]
	v_add_f64 v[220:221], v[220:221], v[228:229]
	v_add_f64 v[224:225], v[224:225], v[238:239]
	v_fma_f64 v[228:229], s[0:1], v[4:5], v[226:227]
	v_fma_f64 v[238:239], s[12:13], v[26:27], v[230:231]
	v_fma_f64 v[226:227], v[4:5], s[0:1], -v[226:227]
	v_fmac_f64_e32 v[230:231], s[26:27], v[26:27]
	v_add_f64 v[14:15], v[226:227], v[14:15]
	v_add_f64 v[226:227], v[230:231], v[240:241]
	v_mul_f64 v[230:231], v[200:201], s[16:17]
	v_add_f64 v[12:13], v[238:239], v[12:13]
	v_fma_f64 v[238:239], s[8:9], v[4:5], v[230:231]
	v_add_f64 v[16:17], v[238:239], v[16:17]
	v_mul_f64 v[238:239], v[6:7], s[8:9]
	v_fma_f64 v[230:231], v[4:5], s[8:9], -v[230:231]
	v_mul_f64 v[200:201], v[200:201], s[30:31]
	v_fma_f64 v[240:241], s[42:43], v[26:27], v[238:239]
	v_add_f64 v[22:23], v[230:231], v[22:23]
	v_fmac_f64_e32 v[238:239], s[16:17], v[26:27]
	v_fma_f64 v[230:231], s[22:23], v[4:5], v[200:201]
	v_mul_f64 v[6:7], v[6:7], s[22:23]
	v_fma_f64 v[4:5], v[4:5], s[22:23], -v[200:201]
	v_add_f64 v[18:19], v[238:239], v[18:19]
	v_fma_f64 v[238:239], s[38:39], v[26:27], v[6:7]
	v_add_f64 v[0:1], v[4:5], v[0:1]
	v_fmac_f64_e32 v[6:7], s[30:31], v[26:27]
	v_add_f64 v[4:5], v[192:193], v[196:197]
	v_add_f64 v[26:27], v[192:193], -v[196:197]
	v_add_f64 v[192:193], v[194:195], -v[198:199]
	v_add_f64 v[2:3], v[6:7], v[2:3]
	v_add_f64 v[6:7], v[194:195], v[198:199]
	v_mul_f64 v[194:195], v[192:193], s[24:25]
	v_fma_f64 v[196:197], s[18:19], v[4:5], v[194:195]
	v_add_f64 v[10:11], v[196:197], v[10:11]
	v_mul_f64 v[196:197], v[6:7], s[18:19]
	v_fma_f64 v[198:199], s[40:41], v[26:27], v[196:197]
	v_fma_f64 v[194:195], v[4:5], s[18:19], -v[194:195]
	v_fmac_f64_e32 v[196:197], s[24:25], v[26:27]
	v_add_f64 v[8:9], v[194:195], v[8:9]
	v_add_f64 v[194:195], v[196:197], v[202:203]
	v_mul_f64 v[196:197], v[192:193], s[38:39]
	v_mul_f64 v[202:203], v[6:7], s[22:23]
	v_add_f64 v[198:199], v[198:199], v[206:207]
	v_fma_f64 v[200:201], s[22:23], v[4:5], v[196:197]
	v_fma_f64 v[206:207], s[30:31], v[26:27], v[202:203]
	v_fma_f64 v[196:197], v[4:5], s[22:23], -v[196:197]
	v_fmac_f64_e32 v[202:203], s[38:39], v[26:27]
	v_add_f64 v[196:197], v[196:197], v[204:205]
	v_add_f64 v[202:203], v[202:203], v[214:215]
	v_mul_f64 v[204:205], v[192:193], s[26:27]
	v_mul_f64 v[214:215], v[6:7], s[0:1]
	v_add_f64 v[200:201], v[200:201], v[212:213]
	v_add_f64 v[206:207], v[206:207], v[218:219]
	v_fma_f64 v[212:213], s[0:1], v[4:5], v[204:205]
	v_fma_f64 v[218:219], s[12:13], v[26:27], v[214:215]
	v_fma_f64 v[204:205], v[4:5], s[0:1], -v[204:205]
	v_fmac_f64_e32 v[214:215], s[26:27], v[26:27]
	v_add_f64 v[204:205], v[204:205], v[216:217]
	v_add_f64 v[214:215], v[214:215], v[222:223]
	v_mul_f64 v[216:217], v[192:193], s[20:21]
	v_mul_f64 v[222:223], v[6:7], s[14:15]
	v_add_f64 v[212:213], v[212:213], v[220:221]
	v_add_f64 v[218:219], v[218:219], v[224:225]
	v_fma_f64 v[220:221], s[14:15], v[4:5], v[216:217]
	v_fma_f64 v[224:225], s[36:37], v[26:27], v[222:223]
	v_fma_f64 v[216:217], v[4:5], s[14:15], -v[216:217]
	v_fmac_f64_e32 v[222:223], s[20:21], v[26:27]
	v_add_f64 v[14:15], v[216:217], v[14:15]
	v_add_f64 v[216:217], v[222:223], v[226:227]
	v_mul_f64 v[222:223], v[192:193], s[44:45]
	v_add_f64 v[12:13], v[224:225], v[12:13]
	v_fma_f64 v[224:225], s[28:29], v[4:5], v[222:223]
	v_add_f64 v[16:17], v[224:225], v[16:17]
	v_mul_f64 v[224:225], v[6:7], s[28:29]
	v_fma_f64 v[222:223], v[4:5], s[28:29], -v[222:223]
	v_mul_f64 v[192:193], v[192:193], s[42:43]
	v_fma_f64 v[226:227], s[34:35], v[26:27], v[224:225]
	v_add_f64 v[22:23], v[222:223], v[22:23]
	v_fmac_f64_e32 v[224:225], s[44:45], v[26:27]
	v_fma_f64 v[222:223], s[8:9], v[4:5], v[192:193]
	v_mul_f64 v[6:7], v[6:7], s[8:9]
	v_fma_f64 v[4:5], v[4:5], s[8:9], -v[192:193]
	v_add_f64 v[18:19], v[224:225], v[18:19]
	v_fma_f64 v[224:225], s[16:17], v[26:27], v[6:7]
	v_add_f64 v[0:1], v[4:5], v[0:1]
	v_fmac_f64_e32 v[6:7], s[42:43], v[26:27]
	v_add_f64 v[4:5], v[184:185], v[188:189]
	v_add_f64 v[26:27], v[184:185], -v[188:189]
	v_add_f64 v[184:185], v[186:187], -v[190:191]
	v_add_f64 v[2:3], v[6:7], v[2:3]
	v_add_f64 v[6:7], v[186:187], v[190:191]
	v_mul_f64 v[186:187], v[184:185], s[30:31]
	v_fma_f64 v[188:189], s[22:23], v[4:5], v[186:187]
	v_add_f64 v[10:11], v[188:189], v[10:11]
	v_mul_f64 v[188:189], v[6:7], s[22:23]
	v_fma_f64 v[190:191], s[38:39], v[26:27], v[188:189]
	v_fma_f64 v[186:187], v[4:5], s[22:23], -v[186:187]
	v_fmac_f64_e32 v[188:189], s[30:31], v[26:27]
	v_add_f64 v[8:9], v[186:187], v[8:9]
	v_add_f64 v[186:187], v[188:189], v[194:195]
	v_mul_f64 v[188:189], v[184:185], s[36:37]
	v_fma_f64 v[192:193], s[14:15], v[4:5], v[188:189]
	v_mul_f64 v[194:195], v[6:7], s[14:15]
	v_fma_f64 v[188:189], v[4:5], s[14:15], -v[188:189]
	v_add_f64 v[190:191], v[190:191], v[198:199]
	v_fma_f64 v[198:199], s[20:21], v[26:27], v[194:195]
	v_add_f64 v[188:189], v[188:189], v[196:197]
	v_fmac_f64_e32 v[194:195], s[36:37], v[26:27]
	v_mul_f64 v[196:197], v[184:185], s[16:17]
	v_add_f64 v[192:193], v[192:193], v[200:201]
	v_add_f64 v[194:195], v[194:195], v[202:203]
	v_fma_f64 v[200:201], s[8:9], v[4:5], v[196:197]
	v_mul_f64 v[202:203], v[6:7], s[8:9]
	v_fma_f64 v[196:197], v[4:5], s[8:9], -v[196:197]
	v_add_f64 v[198:199], v[198:199], v[206:207]
	v_fma_f64 v[206:207], s[42:43], v[26:27], v[202:203]
	v_add_f64 v[196:197], v[196:197], v[204:205]
	v_fmac_f64_e32 v[202:203], s[16:17], v[26:27]
	v_mul_f64 v[204:205], v[184:185], s[44:45]
	v_add_f64 v[200:201], v[200:201], v[212:213]
	v_add_f64 v[202:203], v[202:203], v[214:215]
	v_fma_f64 v[212:213], s[28:29], v[4:5], v[204:205]
	v_mul_f64 v[214:215], v[6:7], s[28:29]
	v_fma_f64 v[204:205], v[4:5], s[28:29], -v[204:205]
	v_add_f64 v[242:243], v[242:243], v[252:253]
	v_add_f64 v[244:245], v[244:245], v[254:255]
	;; [unrolled: 1-line block ×3, first 2 shown]
	v_fma_f64 v[218:219], s[34:35], v[26:27], v[214:215]
	v_add_f64 v[14:15], v[204:205], v[14:15]
	v_fmac_f64_e32 v[214:215], s[44:45], v[26:27]
	v_mul_f64 v[204:205], v[184:185], s[26:27]
	v_add_f64 v[228:229], v[228:229], v[242:243]
	v_add_f64 v[230:231], v[230:231], v[244:245]
	v_add_f64 v[214:215], v[214:215], v[216:217]
	v_fma_f64 v[216:217], s[0:1], v[4:5], v[204:205]
	v_fma_f64 v[204:205], v[4:5], s[0:1], -v[204:205]
	v_mul_f64 v[184:185], v[184:185], s[24:25]
	v_add_f64 v[220:221], v[220:221], v[228:229]
	v_add_f64 v[222:223], v[222:223], v[230:231]
	;; [unrolled: 1-line block ×3, first 2 shown]
	v_fma_f64 v[204:205], s[18:19], v[4:5], v[184:185]
	v_add_f64 v[212:213], v[212:213], v[220:221]
	v_add_f64 v[16:17], v[216:217], v[16:17]
	v_mul_f64 v[216:217], v[6:7], s[0:1]
	v_add_f64 v[220:221], v[204:205], v[222:223]
	v_mul_f64 v[6:7], v[6:7], s[18:19]
	v_fma_f64 v[4:5], v[4:5], s[18:19], -v[184:185]
	v_add_f64 v[222:223], v[178:179], -v[182:183]
	v_add_f64 v[12:13], v[218:219], v[12:13]
	v_fma_f64 v[218:219], s[12:13], v[26:27], v[216:217]
	v_fmac_f64_e32 v[216:217], s[26:27], v[26:27]
	v_fma_f64 v[204:205], s[40:41], v[26:27], v[6:7]
	v_add_f64 v[0:1], v[4:5], v[0:1]
	v_fmac_f64_e32 v[6:7], s[24:25], v[26:27]
	v_add_f64 v[4:5], v[176:177], v[180:181]
	v_add_f64 v[26:27], v[176:177], -v[180:181]
	v_mul_f64 v[180:181], v[222:223], s[34:35]
	v_add_f64 v[2:3], v[6:7], v[2:3]
	v_add_f64 v[6:7], v[178:179], v[182:183]
	v_fma_f64 v[176:177], s[28:29], v[4:5], v[180:181]
	v_add_f64 v[176:177], v[176:177], v[10:11]
	v_mul_f64 v[10:11], v[6:7], s[28:29]
	v_fma_f64 v[180:181], v[4:5], s[28:29], -v[180:181]
	v_fma_f64 v[178:179], s[44:45], v[26:27], v[10:11]
	v_add_f64 v[180:181], v[180:181], v[8:9]
	v_fmac_f64_e32 v[10:11], s[34:35], v[26:27]
	v_mul_f64 v[8:9], v[222:223], s[26:27]
	v_add_f64 v[182:183], v[10:11], v[186:187]
	v_fma_f64 v[10:11], s[0:1], v[4:5], v[8:9]
	v_add_f64 v[184:185], v[10:11], v[192:193]
	v_mul_f64 v[10:11], v[6:7], s[0:1]
	v_fma_f64 v[8:9], v[4:5], s[0:1], -v[8:9]
	v_fma_f64 v[186:187], s[12:13], v[26:27], v[10:11]
	v_add_f64 v[188:189], v[8:9], v[188:189]
	v_fmac_f64_e32 v[10:11], s[26:27], v[26:27]
	v_mul_f64 v[8:9], v[222:223], s[30:31]
	v_add_f64 v[178:179], v[178:179], v[190:191]
	v_add_f64 v[190:191], v[10:11], v[194:195]
	v_fma_f64 v[10:11], s[22:23], v[4:5], v[8:9]
	v_add_f64 v[192:193], v[10:11], v[200:201]
	v_mul_f64 v[10:11], v[6:7], s[22:23]
	v_fma_f64 v[8:9], v[4:5], s[22:23], -v[8:9]
	v_add_f64 v[24:25], v[246:247], v[24:25]
	v_fma_f64 v[194:195], s[38:39], v[26:27], v[10:11]
	v_add_f64 v[196:197], v[8:9], v[196:197]
	v_fmac_f64_e32 v[10:11], s[30:31], v[26:27]
	v_mul_f64 v[8:9], v[222:223], s[42:43]
	v_add_f64 v[24:25], v[238:239], v[24:25]
	v_add_f64 v[186:187], v[186:187], v[198:199]
	;; [unrolled: 1-line block ×3, first 2 shown]
	v_fma_f64 v[10:11], s[8:9], v[4:5], v[8:9]
	v_add_f64 v[24:25], v[224:225], v[24:25]
	v_add_f64 v[200:201], v[10:11], v[212:213]
	v_mul_f64 v[10:11], v[6:7], s[8:9]
	v_fma_f64 v[8:9], v[4:5], s[8:9], -v[8:9]
	v_add_f64 v[24:25], v[204:205], v[24:25]
	v_fma_f64 v[202:203], s[16:17], v[26:27], v[10:11]
	v_add_f64 v[204:205], v[8:9], v[14:15]
	v_fmac_f64_e32 v[10:11], s[42:43], v[26:27]
	v_mul_f64 v[8:9], v[222:223], s[24:25]
	v_add_f64 v[20:21], v[248:249], v[20:21]
	v_add_f64 v[194:195], v[194:195], v[206:207]
	;; [unrolled: 1-line block ×3, first 2 shown]
	v_fma_f64 v[10:11], s[18:19], v[4:5], v[8:9]
	v_add_f64 v[20:21], v[240:241], v[20:21]
	v_add_f64 v[212:213], v[10:11], v[16:17]
	v_mul_f64 v[10:11], v[6:7], s[18:19]
	v_fma_f64 v[8:9], v[4:5], s[18:19], -v[8:9]
	v_add_f64 v[20:21], v[226:227], v[20:21]
	v_add_f64 v[18:19], v[216:217], v[18:19]
	;; [unrolled: 1-line block ×3, first 2 shown]
	v_fma_f64 v[12:13], s[40:41], v[26:27], v[10:11]
	v_add_f64 v[216:217], v[8:9], v[22:23]
	v_fmac_f64_e32 v[10:11], s[24:25], v[26:27]
	v_mul_f64 v[8:9], v[222:223], s[36:37]
	v_add_f64 v[20:21], v[218:219], v[20:21]
	v_add_f64 v[218:219], v[10:11], v[18:19]
	v_fma_f64 v[10:11], s[14:15], v[4:5], v[8:9]
	v_mul_f64 v[6:7], v[6:7], s[14:15]
	v_add_f64 v[220:221], v[10:11], v[220:221]
	v_fma_f64 v[10:11], s[20:21], v[26:27], v[6:7]
	v_fma_f64 v[4:5], v[4:5], s[14:15], -v[8:9]
	v_fmac_f64_e32 v[6:7], s[36:37], v[26:27]
	v_add_f64 v[214:215], v[12:13], v[20:21]
	v_add_f64 v[222:223], v[10:11], v[24:25]
	;; [unrolled: 1-line block ×4, first 2 shown]
	s_waitcnt lgkmcnt(0)
	; wave barrier
	ds_write_b128 v236, v[208:211]
	ds_write_b128 v236, v[176:179] offset:16
	ds_write_b128 v236, v[184:187] offset:32
	;; [unrolled: 1-line block ×12, first 2 shown]
	s_and_saveexec_b64 s[46:47], vcc
	s_cbranch_execz .LBB0_13
; %bb.12:
	v_add_f64 v[242:243], v[52:53], -v[60:61]
	v_add_f64 v[240:241], v[56:57], -v[68:69]
	v_mul_f64 v[20:21], v[242:243], s[34:35]
	v_add_f64 v[214:215], v[54:55], v[62:63]
	v_add_f64 v[238:239], v[64:65], -v[76:77]
	v_mul_f64 v[16:17], v[240:241], s[26:27]
	v_add_f64 v[212:213], v[58:59], v[70:71]
	v_fma_f64 v[22:23], s[28:29], v[214:215], v[20:21]
	v_add_f64 v[254:255], v[54:55], -v[62:63]
	v_accvgpr_write_b32 a1, v237
	v_add_f64 v[236:237], v[72:73], -v[84:85]
	v_mul_f64 v[12:13], v[238:239], s[30:31]
	v_add_f64 v[210:211], v[66:67], v[78:79]
	v_fma_f64 v[18:19], s[0:1], v[212:213], v[16:17]
	v_add_f64 v[22:23], v[174:175], v[22:23]
	v_add_f64 v[252:253], v[58:59], -v[70:71]
	v_add_f64 v[226:227], v[52:53], v[60:61]
	v_mul_f64 v[184:185], v[254:255], s[34:35]
	v_add_f64 v[230:231], v[80:81], -v[88:89]
	v_mul_f64 v[8:9], v[236:237], s[42:43]
	v_add_f64 v[208:209], v[74:75], v[86:87]
	v_fma_f64 v[14:15], s[22:23], v[210:211], v[12:13]
	v_add_f64 v[18:19], v[18:19], v[22:23]
	v_add_f64 v[250:251], v[66:67], -v[78:79]
	v_add_f64 v[224:225], v[56:57], v[68:69]
	v_mul_f64 v[180:181], v[252:253], s[26:27]
	v_fma_f64 v[182:183], v[226:227], s[28:29], -v[184:185]
	v_add_f64 v[228:229], v[92:93], -v[96:97]
	v_mul_f64 v[4:5], v[230:231], s[24:25]
	v_add_f64 v[206:207], v[82:83], v[90:91]
	v_fma_f64 v[10:11], s[8:9], v[208:209], v[8:9]
	v_add_f64 v[14:15], v[14:15], v[18:19]
	v_add_f64 v[248:249], v[74:75], -v[86:87]
	v_add_f64 v[222:223], v[64:65], v[76:77]
	v_mul_f64 v[24:25], v[250:251], s[30:31]
	v_fma_f64 v[176:177], v[224:225], s[0:1], -v[180:181]
	v_add_f64 v[182:183], v[172:173], v[182:183]
	v_mul_f64 v[0:1], v[228:229], s[36:37]
	v_add_f64 v[204:205], v[94:95], v[98:99]
	v_fma_f64 v[6:7], s[18:19], v[206:207], v[4:5]
	v_add_f64 v[10:11], v[10:11], v[14:15]
	v_add_f64 v[246:247], v[82:83], -v[90:91]
	v_add_f64 v[220:221], v[72:73], v[84:85]
	v_mul_f64 v[18:19], v[248:249], s[42:43]
	v_fma_f64 v[26:27], v[222:223], s[22:23], -v[24:25]
	v_add_f64 v[176:177], v[176:177], v[182:183]
	v_fma_f64 v[2:3], s[14:15], v[204:205], v[0:1]
	v_add_f64 v[6:7], v[6:7], v[10:11]
	v_add_f64 v[244:245], v[94:95], -v[98:99]
	v_add_f64 v[218:219], v[80:81], v[88:89]
	v_mul_f64 v[10:11], v[246:247], s[24:25]
	v_fma_f64 v[22:23], v[220:221], s[8:9], -v[18:19]
	v_add_f64 v[26:27], v[26:27], v[176:177]
	v_add_f64 v[178:179], v[2:3], v[6:7]
	;; [unrolled: 1-line block ×3, first 2 shown]
	v_mul_f64 v[2:3], v[244:245], s[36:37]
	v_fma_f64 v[14:15], v[218:219], s[18:19], -v[10:11]
	v_add_f64 v[22:23], v[22:23], v[26:27]
	v_fma_f64 v[6:7], v[216:217], s[14:15], -v[2:3]
	v_add_f64 v[14:15], v[14:15], v[22:23]
	v_add_f64 v[176:177], v[6:7], v[14:15]
	v_fma_f64 v[14:15], v[214:215], s[28:29], -v[20:21]
	v_fma_f64 v[6:7], v[208:209], s[8:9], -v[8:9]
	v_fma_f64 v[8:9], v[210:211], s[22:23], -v[12:13]
	v_fma_f64 v[12:13], v[212:213], s[0:1], -v[16:17]
	v_add_f64 v[14:15], v[174:175], v[14:15]
	v_add_f64 v[12:13], v[12:13], v[14:15]
	v_add_f64 v[8:9], v[8:9], v[12:13]
	v_fma_f64 v[4:5], v[206:207], s[18:19], -v[4:5]
	v_add_f64 v[6:7], v[6:7], v[8:9]
	v_fma_f64 v[0:1], v[204:205], s[14:15], -v[0:1]
	v_add_f64 v[4:5], v[4:5], v[6:7]
	v_fmac_f64_e32 v[184:185], s[28:29], v[226:227]
	v_add_f64 v[182:183], v[0:1], v[4:5]
	v_fmac_f64_e32 v[180:181], s[0:1], v[224:225]
	v_add_f64 v[0:1], v[172:173], v[184:185]
	v_fmac_f64_e32 v[24:25], s[22:23], v[222:223]
	v_add_f64 v[0:1], v[180:181], v[0:1]
	v_mul_f64 v[20:21], v[242:243], s[30:31]
	v_fmac_f64_e32 v[18:19], s[8:9], v[220:221]
	v_add_f64 v[0:1], v[24:25], v[0:1]
	v_mul_f64 v[16:17], v[240:241], s[36:37]
	v_fma_f64 v[22:23], s[22:23], v[214:215], v[20:21]
	v_add_f64 v[0:1], v[18:19], v[0:1]
	v_mul_f64 v[12:13], v[238:239], s[16:17]
	v_fma_f64 v[18:19], s[14:15], v[212:213], v[16:17]
	v_add_f64 v[22:23], v[174:175], v[22:23]
	v_mul_f64 v[192:193], v[254:255], s[30:31]
	v_fmac_f64_e32 v[10:11], s[18:19], v[218:219]
	v_mul_f64 v[8:9], v[236:237], s[44:45]
	v_fma_f64 v[14:15], s[8:9], v[210:211], v[12:13]
	v_add_f64 v[18:19], v[18:19], v[22:23]
	v_mul_f64 v[188:189], v[252:253], s[36:37]
	v_fma_f64 v[190:191], v[226:227], s[22:23], -v[192:193]
	v_fmac_f64_e32 v[2:3], s[14:15], v[216:217]
	v_add_f64 v[0:1], v[10:11], v[0:1]
	v_mul_f64 v[4:5], v[230:231], s[26:27]
	v_fma_f64 v[10:11], s[28:29], v[208:209], v[8:9]
	v_add_f64 v[14:15], v[14:15], v[18:19]
	v_mul_f64 v[24:25], v[250:251], s[16:17]
	v_fma_f64 v[184:185], v[224:225], s[14:15], -v[188:189]
	v_add_f64 v[190:191], v[172:173], v[190:191]
	v_add_f64 v[180:181], v[2:3], v[0:1]
	v_mul_f64 v[0:1], v[228:229], s[24:25]
	v_fma_f64 v[6:7], s[0:1], v[206:207], v[4:5]
	v_add_f64 v[10:11], v[10:11], v[14:15]
	v_mul_f64 v[18:19], v[248:249], s[44:45]
	v_fma_f64 v[26:27], v[222:223], s[8:9], -v[24:25]
	v_add_f64 v[184:185], v[184:185], v[190:191]
	v_fma_f64 v[2:3], s[18:19], v[204:205], v[0:1]
	v_add_f64 v[6:7], v[6:7], v[10:11]
	v_mul_f64 v[10:11], v[246:247], s[26:27]
	v_fma_f64 v[22:23], v[220:221], s[28:29], -v[18:19]
	v_add_f64 v[26:27], v[26:27], v[184:185]
	v_add_f64 v[186:187], v[2:3], v[6:7]
	v_mul_f64 v[2:3], v[244:245], s[24:25]
	v_fma_f64 v[14:15], v[218:219], s[0:1], -v[10:11]
	v_add_f64 v[22:23], v[22:23], v[26:27]
	v_fma_f64 v[6:7], v[216:217], s[18:19], -v[2:3]
	v_add_f64 v[14:15], v[14:15], v[22:23]
	v_add_f64 v[184:185], v[6:7], v[14:15]
	v_fma_f64 v[14:15], v[214:215], s[22:23], -v[20:21]
	v_fma_f64 v[6:7], v[208:209], s[28:29], -v[8:9]
	v_fma_f64 v[8:9], v[210:211], s[8:9], -v[12:13]
	v_fma_f64 v[12:13], v[212:213], s[14:15], -v[16:17]
	v_add_f64 v[14:15], v[174:175], v[14:15]
	v_add_f64 v[12:13], v[12:13], v[14:15]
	v_add_f64 v[8:9], v[8:9], v[12:13]
	v_fma_f64 v[4:5], v[206:207], s[0:1], -v[4:5]
	v_add_f64 v[6:7], v[6:7], v[8:9]
	v_fma_f64 v[0:1], v[204:205], s[18:19], -v[0:1]
	v_add_f64 v[4:5], v[4:5], v[6:7]
	v_fmac_f64_e32 v[192:193], s[22:23], v[226:227]
	v_add_f64 v[190:191], v[0:1], v[4:5]
	v_fmac_f64_e32 v[188:189], s[14:15], v[224:225]
	v_add_f64 v[0:1], v[172:173], v[192:193]
	v_fmac_f64_e32 v[24:25], s[8:9], v[222:223]
	v_add_f64 v[0:1], v[188:189], v[0:1]
	v_mul_f64 v[20:21], v[242:243], s[24:25]
	v_fmac_f64_e32 v[18:19], s[28:29], v[220:221]
	v_add_f64 v[0:1], v[24:25], v[0:1]
	v_mul_f64 v[16:17], v[240:241], s[38:39]
	v_fma_f64 v[22:23], s[18:19], v[214:215], v[20:21]
	v_add_f64 v[0:1], v[18:19], v[0:1]
	v_mul_f64 v[12:13], v[238:239], s[26:27]
	v_fma_f64 v[18:19], s[22:23], v[212:213], v[16:17]
	v_add_f64 v[22:23], v[174:175], v[22:23]
	v_mul_f64 v[200:201], v[254:255], s[24:25]
	v_fmac_f64_e32 v[10:11], s[0:1], v[218:219]
	v_mul_f64 v[8:9], v[236:237], s[20:21]
	v_fma_f64 v[14:15], s[0:1], v[210:211], v[12:13]
	v_add_f64 v[18:19], v[18:19], v[22:23]
	v_mul_f64 v[196:197], v[252:253], s[38:39]
	v_fma_f64 v[198:199], v[226:227], s[18:19], -v[200:201]
	v_fmac_f64_e32 v[2:3], s[18:19], v[216:217]
	v_add_f64 v[0:1], v[10:11], v[0:1]
	v_mul_f64 v[4:5], v[230:231], s[44:45]
	v_fma_f64 v[10:11], s[14:15], v[208:209], v[8:9]
	v_add_f64 v[14:15], v[14:15], v[18:19]
	v_mul_f64 v[24:25], v[250:251], s[26:27]
	v_fma_f64 v[192:193], v[224:225], s[22:23], -v[196:197]
	v_add_f64 v[198:199], v[172:173], v[198:199]
	v_add_f64 v[188:189], v[2:3], v[0:1]
	v_mul_f64 v[0:1], v[228:229], s[42:43]
	v_fma_f64 v[6:7], s[28:29], v[206:207], v[4:5]
	v_add_f64 v[10:11], v[10:11], v[14:15]
	v_mul_f64 v[18:19], v[248:249], s[20:21]
	v_fma_f64 v[26:27], v[222:223], s[0:1], -v[24:25]
	v_add_f64 v[192:193], v[192:193], v[198:199]
	v_fma_f64 v[2:3], s[8:9], v[204:205], v[0:1]
	v_add_f64 v[6:7], v[6:7], v[10:11]
	v_mul_f64 v[10:11], v[246:247], s[44:45]
	v_fma_f64 v[22:23], v[220:221], s[14:15], -v[18:19]
	v_add_f64 v[26:27], v[26:27], v[192:193]
	v_add_f64 v[194:195], v[2:3], v[6:7]
	;; [unrolled: 60-line block ×3, first 2 shown]
	v_mul_f64 v[6:7], v[244:245], s[30:31]
	v_fma_f64 v[14:15], v[218:219], s[8:9], -v[10:11]
	v_add_f64 v[22:23], v[22:23], v[26:27]
	v_fma_f64 v[2:3], v[216:217], s[22:23], -v[6:7]
	v_add_f64 v[14:15], v[14:15], v[22:23]
	v_add_f64 v[200:201], v[2:3], v[14:15]
	v_fma_f64 v[14:15], v[214:215], s[14:15], -v[20:21]
	v_fma_f64 v[2:3], v[206:207], s[8:9], -v[4:5]
	;; [unrolled: 1-line block ×5, first 2 shown]
	v_add_f64 v[14:15], v[174:175], v[14:15]
	v_add_f64 v[12:13], v[12:13], v[14:15]
	v_add_f64 v[8:9], v[8:9], v[12:13]
	v_add_f64 v[4:5], v[4:5], v[8:9]
	v_fma_f64 v[0:1], v[204:205], s[22:23], -v[0:1]
	v_add_f64 v[2:3], v[2:3], v[4:5]
	v_fmac_f64_e32 v[32:33], s[14:15], v[226:227]
	v_add_f64 v[2:3], v[0:1], v[2:3]
	v_fmac_f64_e32 v[28:29], s[28:29], v[224:225]
	;; [unrolled: 2-line block ×3, first 2 shown]
	v_add_f64 v[0:1], v[28:29], v[0:1]
	v_add_f64 v[0:1], v[24:25], v[0:1]
	v_mul_f64 v[24:25], v[242:243], s[16:17]
	v_mul_f64 v[20:21], v[240:241], s[24:25]
	v_fma_f64 v[26:27], s[8:9], v[214:215], v[24:25]
	v_accvgpr_write_b32 a46, v38
	v_accvgpr_write_b32 a47, v39
	v_mul_f64 v[38:39], v[254:255], s[16:17]
	v_fmac_f64_e32 v[18:19], s[0:1], v[220:221]
	v_mul_f64 v[16:17], v[238:239], s[34:35]
	v_fma_f64 v[22:23], s[18:19], v[212:213], v[20:21]
	v_add_f64 v[26:27], v[174:175], v[26:27]
	v_mul_f64 v[34:35], v[252:253], s[24:25]
	v_accvgpr_write_b32 a48, v40
	v_accvgpr_write_b32 a49, v41
	v_fma_f64 v[40:41], v[226:227], s[8:9], -v[38:39]
	v_fmac_f64_e32 v[10:11], s[8:9], v[218:219]
	v_add_f64 v[0:1], v[18:19], v[0:1]
	v_mul_f64 v[12:13], v[236:237], s[38:39]
	v_fma_f64 v[18:19], s[28:29], v[210:211], v[16:17]
	v_add_f64 v[22:23], v[22:23], v[26:27]
	v_mul_f64 v[30:31], v[250:251], s[34:35]
	v_fma_f64 v[36:37], v[224:225], s[18:19], -v[34:35]
	v_add_f64 v[40:41], v[172:173], v[40:41]
	v_fmac_f64_e32 v[6:7], s[22:23], v[216:217]
	v_add_f64 v[0:1], v[10:11], v[0:1]
	v_mul_f64 v[10:11], v[230:231], s[36:37]
	v_fma_f64 v[14:15], s[22:23], v[208:209], v[12:13]
	v_add_f64 v[18:19], v[18:19], v[22:23]
	v_mul_f64 v[26:27], v[248:249], s[38:39]
	v_fma_f64 v[32:33], v[222:223], s[28:29], -v[30:31]
	v_add_f64 v[36:37], v[36:37], v[40:41]
	v_add_f64 v[0:1], v[6:7], v[0:1]
	v_mul_f64 v[8:9], v[228:229], s[26:27]
	v_fma_f64 v[6:7], s[14:15], v[206:207], v[10:11]
	v_add_f64 v[14:15], v[14:15], v[18:19]
	v_mul_f64 v[18:19], v[246:247], s[36:37]
	v_fma_f64 v[28:29], v[220:221], s[22:23], -v[26:27]
	v_add_f64 v[32:33], v[32:33], v[36:37]
	v_fma_f64 v[4:5], s[0:1], v[204:205], v[8:9]
	v_add_f64 v[6:7], v[6:7], v[14:15]
	v_mul_f64 v[14:15], v[244:245], s[26:27]
	v_fma_f64 v[22:23], v[218:219], s[14:15], -v[18:19]
	v_add_f64 v[28:29], v[28:29], v[32:33]
	v_add_f64 v[6:7], v[4:5], v[6:7]
	v_fma_f64 v[4:5], v[216:217], s[0:1], -v[14:15]
	v_add_f64 v[22:23], v[22:23], v[28:29]
	v_add_f64 v[4:5], v[4:5], v[22:23]
	v_fma_f64 v[22:23], v[214:215], s[8:9], -v[24:25]
	v_fma_f64 v[20:21], v[212:213], s[18:19], -v[20:21]
	v_add_f64 v[22:23], v[174:175], v[22:23]
	v_fma_f64 v[16:17], v[210:211], s[28:29], -v[16:17]
	v_add_f64 v[20:21], v[20:21], v[22:23]
	;; [unrolled: 2-line block ×5, first 2 shown]
	v_fmac_f64_e32 v[38:39], s[8:9], v[226:227]
	v_add_f64 v[10:11], v[8:9], v[10:11]
	v_fmac_f64_e32 v[34:35], s[18:19], v[224:225]
	v_add_f64 v[8:9], v[172:173], v[38:39]
	v_mul_f64 v[32:33], v[242:243], s[12:13]
	v_fmac_f64_e32 v[30:31], s[28:29], v[222:223]
	v_add_f64 v[8:9], v[34:35], v[8:9]
	v_mul_f64 v[28:29], v[240:241], s[16:17]
	v_fma_f64 v[34:35], s[0:1], v[214:215], v[32:33]
	v_fmac_f64_e32 v[26:27], s[22:23], v[220:221]
	v_add_f64 v[8:9], v[30:31], v[8:9]
	v_mul_f64 v[20:21], v[236:237], s[24:25]
	v_mul_f64 v[24:25], v[238:239], s[20:21]
	v_fma_f64 v[30:31], s[8:9], v[212:213], v[28:29]
	v_add_f64 v[34:35], v[174:175], v[34:35]
	v_mul_f64 v[236:237], v[254:255], s[12:13]
	v_add_f64 v[8:9], v[26:27], v[8:9]
	v_mul_f64 v[12:13], v[228:229], s[34:35]
	v_fma_f64 v[26:27], s[14:15], v[210:211], v[24:25]
	v_add_f64 v[30:31], v[30:31], v[34:35]
	v_mul_f64 v[40:41], v[252:253], s[16:17]
	v_fma_f64 v[228:229], v[226:227], s[0:1], -v[236:237]
	v_fmac_f64_e32 v[18:19], s[14:15], v[218:219]
	v_mul_f64 v[16:17], v[230:231], s[30:31]
	v_fma_f64 v[22:23], s[18:19], v[208:209], v[20:21]
	v_add_f64 v[26:27], v[26:27], v[30:31]
	v_mul_f64 v[36:37], v[250:251], s[20:21]
	v_mov_b32_e32 v238, v42
	v_fma_f64 v[42:43], v[224:225], s[8:9], -v[40:41]
	v_add_f64 v[228:229], v[172:173], v[228:229]
	v_fmac_f64_e32 v[14:15], s[0:1], v[216:217]
	v_add_f64 v[8:9], v[18:19], v[8:9]
	v_fma_f64 v[18:19], s[22:23], v[206:207], v[16:17]
	v_add_f64 v[22:23], v[22:23], v[26:27]
	v_mul_f64 v[30:31], v[248:249], s[24:25]
	v_fma_f64 v[38:39], v[222:223], s[14:15], -v[36:37]
	v_add_f64 v[42:43], v[42:43], v[228:229]
	v_add_f64 v[8:9], v[14:15], v[8:9]
	v_fma_f64 v[14:15], s[28:29], v[204:205], v[12:13]
	v_add_f64 v[18:19], v[18:19], v[22:23]
	v_mul_f64 v[22:23], v[246:247], s[30:31]
	v_fma_f64 v[34:35], v[220:221], s[18:19], -v[30:31]
	v_add_f64 v[38:39], v[38:39], v[42:43]
	v_add_f64 v[230:231], v[14:15], v[18:19]
	v_mul_f64 v[14:15], v[244:245], s[34:35]
	v_fma_f64 v[26:27], v[218:219], s[22:23], -v[22:23]
	v_add_f64 v[34:35], v[34:35], v[38:39]
	v_fma_f64 v[18:19], v[216:217], s[28:29], -v[14:15]
	v_add_f64 v[26:27], v[26:27], v[34:35]
	v_add_f64 v[228:229], v[18:19], v[26:27]
	v_fma_f64 v[26:27], v[214:215], s[0:1], -v[32:33]
	v_fma_f64 v[18:19], v[208:209], s[18:19], -v[20:21]
	;; [unrolled: 1-line block ×4, first 2 shown]
	v_add_f64 v[26:27], v[174:175], v[26:27]
	v_add_f64 v[24:25], v[24:25], v[26:27]
	;; [unrolled: 1-line block ×3, first 2 shown]
	v_fma_f64 v[16:17], v[206:207], s[22:23], -v[16:17]
	v_add_f64 v[18:19], v[18:19], v[20:21]
	v_fma_f64 v[12:13], v[204:205], s[28:29], -v[12:13]
	v_add_f64 v[16:17], v[16:17], v[18:19]
	v_fmac_f64_e32 v[236:237], s[0:1], v[226:227]
	v_add_f64 v[206:207], v[12:13], v[16:17]
	v_fmac_f64_e32 v[40:41], s[8:9], v[224:225]
	;; [unrolled: 2-line block ×6, first 2 shown]
	v_add_f64 v[12:13], v[22:23], v[12:13]
	v_add_f64 v[204:205], v[14:15], v[12:13]
	;; [unrolled: 1-line block ×25, first 2 shown]
	v_mov_b32_e32 v42, v238
	v_accvgpr_read_b32 v39, a47
	v_accvgpr_read_b32 v38, a46
	;; [unrolled: 1-line block ×5, first 2 shown]
	v_add_f64 v[52:53], v[12:13], v[60:61]
	ds_write_b128 v233, v[52:55] offset:2704
	ds_write_b128 v233, v[204:207] offset:2720
	;; [unrolled: 1-line block ×13, first 2 shown]
.LBB0_13:
	s_or_b64 exec, exec, s[46:47]
	s_waitcnt lgkmcnt(0)
	; wave barrier
	s_waitcnt lgkmcnt(0)
	ds_read_b128 v[0:3], v235 offset:1456
	ds_read_b128 v[4:7], v235
	ds_read_b128 v[8:11], v235 offset:208
	ds_read_b128 v[52:55], v235 offset:1664
	;; [unrolled: 1-line block ×12, first 2 shown]
	s_waitcnt lgkmcnt(13)
	v_mul_f64 v[12:13], v[106:107], v[2:3]
	v_fmac_f64_e32 v[12:13], v[104:105], v[0:1]
	v_mul_f64 v[0:1], v[106:107], v[0:1]
	v_fma_f64 v[2:3], v[104:105], v[2:3], -v[0:1]
	s_waitcnt lgkmcnt(10)
	v_mul_f64 v[0:1], v[106:107], v[52:53]
	v_fma_f64 v[16:17], v[104:105], v[54:55], -v[0:1]
	s_waitcnt lgkmcnt(9)
	;; [unrolled: 3-line block ×5, first 2 shown]
	v_mul_f64 v[0:1], v[122:123], v[94:95]
	v_mul_f64 v[14:15], v[106:107], v[54:55]
	v_mul_f64 v[18:19], v[102:103], v[58:59]
	v_mul_f64 v[22:23], v[114:115], v[76:77]
	v_mul_f64 v[26:27], v[110:111], v[80:81]
	v_mul_f64 v[30:31], v[122:123], v[96:97]
	v_fma_f64 v[32:33], v[120:121], v[96:97], -v[0:1]
	s_waitcnt lgkmcnt(0)
	v_mul_f64 v[34:35], v[118:119], v[174:175]
	v_mul_f64 v[0:1], v[118:119], v[172:173]
	v_fmac_f64_e32 v[14:15], v[104:105], v[52:53]
	v_fmac_f64_e32 v[18:19], v[100:101], v[56:57]
	;; [unrolled: 1-line block ×6, first 2 shown]
	v_fma_f64 v[36:37], v[116:117], v[174:175], -v[0:1]
	v_add_f64 v[0:1], v[4:5], -v[12:13]
	v_add_f64 v[2:3], v[6:7], -v[2:3]
	;; [unrolled: 1-line block ×14, first 2 shown]
	v_fma_f64 v[4:5], v[4:5], 2.0, -v[0:1]
	v_fma_f64 v[6:7], v[6:7], 2.0, -v[2:3]
	;; [unrolled: 1-line block ×14, first 2 shown]
	s_waitcnt lgkmcnt(0)
	; wave barrier
	ds_write_b128 v235, v[4:7]
	ds_write_b128 v235, v[0:3] offset:208
	ds_write_b128 v235, v[8:11] offset:416
	;; [unrolled: 1-line block ×13, first 2 shown]
	s_waitcnt lgkmcnt(0)
	; wave barrier
	s_waitcnt lgkmcnt(0)
	ds_read_b128 v[0:3], v235
	ds_read_b128 v[52:55], v235 offset:208
	ds_read_b128 v[4:7], v235 offset:416
	;; [unrolled: 1-line block ×13, first 2 shown]
	s_waitcnt lgkmcnt(10)
	v_mul_f64 v[32:33], v[162:163], v[10:11]
	v_fmac_f64_e32 v[32:33], v[160:161], v[8:9]
	v_mul_f64 v[8:9], v[162:163], v[8:9]
	v_fma_f64 v[34:35], v[160:161], v[10:11], -v[8:9]
	s_waitcnt lgkmcnt(8)
	v_mul_f64 v[8:9], v[158:159], v[66:67]
	v_mul_f64 v[12:13], v[138:139], v[6:7]
	v_fma_f64 v[38:39], v[156:157], v[68:69], -v[8:9]
	s_waitcnt lgkmcnt(6)
	v_mul_f64 v[8:9], v[154:155], v[74:75]
	v_fmac_f64_e32 v[12:13], v[136:137], v[4:5]
	v_mul_f64 v[4:5], v[138:139], v[4:5]
	s_waitcnt lgkmcnt(5)
	v_mul_f64 v[22:23], v[126:127], v[78:79]
	v_fma_f64 v[42:43], v[152:153], v[76:77], -v[8:9]
	s_waitcnt lgkmcnt(4)
	v_mul_f64 v[8:9], v[150:151], v[82:83]
	v_fma_f64 v[4:5], v[136:137], v[6:7], -v[4:5]
	v_mul_f64 v[6:7], v[134:135], v[58:59]
	v_mul_f64 v[20:21], v[126:127], v[80:81]
	v_fma_f64 v[22:23], v[124:125], v[80:81], -v[22:23]
	s_waitcnt lgkmcnt(3)
	v_mul_f64 v[24:25], v[146:147], v[88:89]
	s_waitcnt lgkmcnt(1)
	v_mul_f64 v[28:29], v[142:143], v[96:97]
	v_fma_f64 v[80:81], v[148:149], v[84:85], -v[8:9]
	v_mul_f64 v[8:9], v[170:171], v[90:91]
	v_fmac_f64_e32 v[6:7], v[132:133], v[56:57]
	v_mul_f64 v[14:15], v[134:135], v[56:57]
	v_mul_f64 v[16:17], v[130:131], v[72:73]
	v_fmac_f64_e32 v[20:21], v[124:125], v[78:79]
	v_fmac_f64_e32 v[24:25], v[144:145], v[86:87]
	v_mul_f64 v[26:27], v[146:147], v[86:87]
	v_fmac_f64_e32 v[28:29], v[140:141], v[94:95]
	v_mul_f64 v[30:31], v[142:143], v[94:95]
	v_mul_f64 v[78:79], v[150:151], v[84:85]
	v_fma_f64 v[84:85], v[168:169], v[92:93], -v[8:9]
	s_waitcnt lgkmcnt(0)
	v_mul_f64 v[8:9], v[166:167], v[98:99]
	v_fma_f64 v[14:15], v[132:133], v[58:59], -v[14:15]
	v_fmac_f64_e32 v[16:17], v[128:129], v[70:71]
	v_mul_f64 v[18:19], v[130:131], v[70:71]
	v_fma_f64 v[26:27], v[144:145], v[88:89], -v[26:27]
	v_fma_f64 v[30:31], v[140:141], v[96:97], -v[30:31]
	;; [unrolled: 1-line block ×3, first 2 shown]
	v_add_f64 v[8:9], v[12:13], v[28:29]
	v_add_f64 v[12:13], v[12:13], -v[28:29]
	v_add_f64 v[28:29], v[6:7], v[24:25]
	v_fma_f64 v[18:19], v[128:129], v[72:73], -v[18:19]
	v_add_f64 v[10:11], v[4:5], v[30:31]
	v_add_f64 v[4:5], v[4:5], -v[30:31]
	v_add_f64 v[30:31], v[14:15], v[26:27]
	v_add_f64 v[6:7], v[6:7], -v[24:25]
	;; [unrolled: 2-line block ×3, first 2 shown]
	v_add_f64 v[20:21], v[28:29], v[8:9]
	v_mad_u64_u32 v[62:63], s[0:1], s6, v234, 0
	v_add_f64 v[14:15], v[14:15], -v[26:27]
	v_add_f64 v[26:27], v[18:19], v[22:23]
	v_add_f64 v[18:19], v[22:23], -v[18:19]
	v_add_f64 v[22:23], v[30:31], v[10:11]
	v_add_f64 v[56:57], v[16:17], v[6:7]
	;; [unrolled: 1-line block ×3, first 2 shown]
	v_mov_b32_e32 v60, s10
	v_mov_b32_e32 v61, s11
	v_mul_f64 v[36:37], v[158:159], v[68:69]
	v_mul_f64 v[40:41], v[154:155], v[76:77]
	v_add_f64 v[58:59], v[18:19], v[14:15]
	v_add_f64 v[70:71], v[16:17], -v[6:7]
	v_add_f64 v[16:17], v[12:13], -v[16:17]
	;; [unrolled: 1-line block ×3, first 2 shown]
	v_add_f64 v[22:23], v[26:27], v[22:23]
	v_add_f64 v[12:13], v[56:57], v[12:13]
	;; [unrolled: 1-line block ×3, first 2 shown]
	s_mov_b32 s8, 0x37e14327
	s_mov_b32 s0, 0x36b3c0b5
	;; [unrolled: 1-line block ×5, first 2 shown]
	v_fmac_f64_e32 v[36:37], v[156:157], v[66:67]
	v_fmac_f64_e32 v[40:41], v[152:153], v[74:75]
	v_add_f64 v[66:67], v[28:29], -v[8:9]
	v_add_f64 v[68:69], v[30:31], -v[10:11]
	;; [unrolled: 1-line block ×8, first 2 shown]
	v_add_f64 v[4:5], v[58:59], v[4:5]
	v_add_f64 v[58:59], v[2:3], v[22:23]
	s_mov_b32 s9, 0x3fe948f6
	s_mov_b32 s1, 0x3fac98ee
	;; [unrolled: 1-line block ×5, first 2 shown]
	v_mov_b64_e32 v[74:75], v[56:57]
	s_mov_b32 s16, 0x5476071b
	s_mov_b32 s20, 0xb247c609
	v_add_f64 v[28:29], v[24:25], -v[28:29]
	v_mul_f64 v[0:1], v[8:9], s[8:9]
	v_mul_f64 v[2:3], v[10:11], s[8:9]
	;; [unrolled: 1-line block ×5, first 2 shown]
	v_fmac_f64_e32 v[74:75], s[14:15], v[20:21]
	v_mov_b64_e32 v[20:21], v[58:59]
	s_mov_b32 s17, 0x3fe77f67
	s_mov_b32 s19, 0xbfe77f67
	;; [unrolled: 1-line block ×7, first 2 shown]
	v_fmac_f64_e32 v[78:79], v[148:149], v[82:83]
	v_mul_f64 v[82:83], v[170:171], v[92:93]
	v_mul_f64 v[86:87], v[166:167], v[100:101]
	;; [unrolled: 1-line block ×5, first 2 shown]
	v_fmac_f64_e32 v[20:21], s[14:15], v[22:23]
	v_fma_f64 v[10:11], v[68:69], s[16:17], -v[10:11]
	v_fma_f64 v[22:23], v[66:67], s[18:19], -v[0:1]
	v_fmac_f64_e32 v[0:1], s[0:1], v[28:29]
	v_fma_f64 v[28:29], v[68:69], s[18:19], -v[2:3]
	v_fmac_f64_e32 v[2:3], s[0:1], v[30:31]
	;; [unrolled: 2-line block ×3, first 2 shown]
	v_fma_f64 v[16:17], v[16:17], s[24:25], -v[70:71]
	s_mov_b32 s23, 0xbfdc38aa
	v_fmac_f64_e32 v[82:83], v[168:169], v[90:91]
	v_fmac_f64_e32 v[86:87], v[164:165], v[98:99]
	v_fma_f64 v[8:9], v[66:67], s[16:17], -v[8:9]
	v_fma_f64 v[14:15], v[14:15], s[10:11], -v[26:27]
	v_fmac_f64_e32 v[26:27], s[20:21], v[18:19]
	v_fma_f64 v[18:19], v[18:19], s[24:25], -v[72:73]
	v_add_f64 v[90:91], v[2:3], v[20:21]
	v_add_f64 v[68:69], v[10:11], v[20:21]
	;; [unrolled: 1-line block ×3, first 2 shown]
	v_fmac_f64_e32 v[16:17], s[22:23], v[12:13]
	v_add_f64 v[76:77], v[0:1], v[74:75]
	v_add_f64 v[66:67], v[8:9], v[74:75]
	;; [unrolled: 1-line block ×3, first 2 shown]
	v_fmac_f64_e32 v[24:25], s[22:23], v[12:13]
	v_fmac_f64_e32 v[26:27], s[22:23], v[4:5]
	;; [unrolled: 1-line block ×5, first 2 shown]
	v_add_f64 v[6:7], v[20:21], -v[16:17]
	v_add_f64 v[72:73], v[16:17], v[20:21]
	v_add_f64 v[12:13], v[32:33], v[86:87]
	v_add_f64 v[20:21], v[36:37], v[82:83]
	v_add_f64 v[0:1], v[26:27], v[76:77]
	v_add_f64 v[2:3], v[90:91], -v[24:25]
	v_add_f64 v[4:5], v[18:19], v[22:23]
	v_add_f64 v[8:9], v[66:67], -v[14:15]
	v_add_f64 v[66:67], v[14:15], v[66:67]
	v_add_f64 v[70:71], v[22:23], -v[18:19]
	v_add_f64 v[74:75], v[76:77], -v[26:27]
	v_add_f64 v[76:77], v[24:25], v[90:91]
	v_add_f64 v[14:15], v[34:35], v[88:89]
	;; [unrolled: 1-line block ×3, first 2 shown]
	v_add_f64 v[24:25], v[36:37], -v[82:83]
	v_add_f64 v[28:29], v[40:41], v[78:79]
	v_add_f64 v[36:37], v[20:21], v[12:13]
	;; [unrolled: 1-line block ×3, first 2 shown]
	v_add_f64 v[68:69], v[68:69], -v[30:31]
	v_add_f64 v[16:17], v[32:33], -v[86:87]
	v_add_f64 v[18:19], v[34:35], -v[88:89]
	v_add_f64 v[26:27], v[38:39], -v[84:85]
	v_add_f64 v[30:31], v[42:43], v[80:81]
	v_add_f64 v[32:33], v[78:79], -v[40:41]
	v_add_f64 v[34:35], v[80:81], -v[42:43]
	v_add_f64 v[38:39], v[22:23], v[14:15]
	v_add_f64 v[40:41], v[20:21], -v[12:13]
	v_add_f64 v[12:13], v[12:13], -v[28:29]
	v_add_f64 v[20:21], v[28:29], -v[20:21]
	v_add_f64 v[28:29], v[28:29], v[36:37]
	v_add_f64 v[42:43], v[22:23], -v[14:15]
	v_add_f64 v[14:15], v[14:15], -v[30:31]
	;; [unrolled: 1-line block ×4, first 2 shown]
	v_add_f64 v[30:31], v[30:31], v[38:39]
	v_add_f64 v[52:53], v[52:53], v[28:29]
	;; [unrolled: 1-line block ×4, first 2 shown]
	v_add_f64 v[82:83], v[32:33], -v[24:25]
	v_add_f64 v[24:25], v[24:25], -v[16:17]
	;; [unrolled: 1-line block ×3, first 2 shown]
	v_add_f64 v[54:55], v[54:55], v[30:31]
	v_mul_f64 v[98:99], v[84:85], s[12:13]
	v_mov_b64_e32 v[84:85], v[52:53]
	v_add_f64 v[32:33], v[16:17], -v[32:33]
	v_add_f64 v[34:35], v[18:19], -v[34:35]
	v_add_f64 v[16:17], v[78:79], v[16:17]
	v_add_f64 v[18:19], v[80:81], v[18:19]
	v_mul_f64 v[12:13], v[12:13], s[8:9]
	v_mul_f64 v[14:15], v[14:15], s[8:9]
	;; [unrolled: 1-line block ×7, first 2 shown]
	v_fmac_f64_e32 v[84:85], s[14:15], v[28:29]
	v_mov_b64_e32 v[28:29], v[54:55]
	v_fmac_f64_e32 v[28:29], s[14:15], v[30:31]
	v_fma_f64 v[20:21], s[0:1], v[20:21], v[12:13]
	v_fma_f64 v[30:31], v[40:41], s[16:17], -v[36:37]
	v_fma_f64 v[36:37], v[42:43], s[16:17], -v[38:39]
	;; [unrolled: 1-line block ×4, first 2 shown]
	v_fmac_f64_e32 v[14:15], s[0:1], v[22:23]
	v_fma_f64 v[22:23], s[20:21], v[32:33], v[78:79]
	v_fma_f64 v[24:25], v[24:25], s[10:11], -v[78:79]
	v_fma_f64 v[26:27], v[26:27], s[10:11], -v[98:99]
	v_fmac_f64_e32 v[98:99], s[20:21], v[34:35]
	v_fma_f64 v[32:33], v[32:33], s[24:25], -v[80:81]
	v_fma_f64 v[34:35], v[34:35], s[24:25], -v[82:83]
	v_add_f64 v[20:21], v[20:21], v[84:85]
	v_add_f64 v[14:15], v[14:15], v[28:29]
	;; [unrolled: 1-line block ×6, first 2 shown]
	v_fmac_f64_e32 v[22:23], s[22:23], v[16:17]
	v_fmac_f64_e32 v[98:99], s[22:23], v[18:19]
	;; [unrolled: 1-line block ×6, first 2 shown]
	v_add_f64 v[78:79], v[98:99], v[20:21]
	v_add_f64 v[80:81], v[14:15], -v[22:23]
	v_add_f64 v[82:83], v[34:35], v[12:13]
	v_add_f64 v[84:85], v[28:29], -v[32:33]
	v_add_f64 v[86:87], v[30:31], -v[26:27]
	v_add_f64 v[88:89], v[24:25], v[36:37]
	v_add_f64 v[90:91], v[26:27], v[30:31]
	v_add_f64 v[92:93], v[36:37], -v[24:25]
	v_add_f64 v[94:95], v[12:13], -v[34:35]
	v_add_f64 v[96:97], v[32:33], v[28:29]
	v_add_f64 v[98:99], v[20:21], -v[98:99]
	v_add_f64 v[100:101], v[22:23], v[14:15]
	ds_write_b128 v235, v[56:59]
	ds_write_b128 v235, v[0:3] offset:416
	ds_write_b128 v235, v[4:7] offset:832
	;; [unrolled: 1-line block ×13, first 2 shown]
	s_waitcnt lgkmcnt(0)
	; wave barrier
	s_waitcnt lgkmcnt(0)
	ds_read_b128 v[0:3], v235
	v_mov_b32_e32 v64, v63
	v_accvgpr_read_b32 v10, a38
	v_mad_u64_u32 v[4:5], s[0:1], s7, v234, v[64:65]
	v_accvgpr_read_b32 v12, a40
	v_accvgpr_read_b32 v13, a41
	v_mov_b32_e32 v63, v4
	ds_read_b128 v[4:7], v235 offset:224
	v_accvgpr_read_b32 v11, a39
	s_waitcnt lgkmcnt(1)
	v_mul_f64 v[8:9], v[12:13], v[2:3]
	v_fmac_f64_e32 v[8:9], v[10:11], v[0:1]
	s_mov_b32 s0, 0x16816817
	v_mul_f64 v[0:1], v[12:13], v[0:1]
	s_mov_b32 s1, 0x3f768168
	v_fma_f64 v[0:1], v[10:11], v[2:3], -v[0:1]
	v_accvgpr_read_b32 v12, a0
	v_mul_f64 v[10:11], v[0:1], s[0:1]
	v_mad_u64_u32 v[0:1], s[6:7], s4, v12, 0
	v_mov_b32_e32 v2, v1
	v_mad_u64_u32 v[2:3], s[6:7], s5, v12, v[2:3]
	v_mov_b32_e32 v1, v2
	v_lshl_add_u64 v[36:37], v[62:63], 4, v[60:61]
	v_mul_f64 v[8:9], v[8:9], s[0:1]
	v_lshl_add_u64 v[12:13], v[0:1], 4, v[36:37]
	global_store_dwordx4 v[12:13], v[8:11], off
	v_mov_b32_e32 v14, 0xe0
	v_mad_u64_u32 v[12:13], s[6:7], s4, v14, v[12:13]
	v_accvgpr_read_b32 v8, a18
	v_accvgpr_read_b32 v10, a20
	;; [unrolled: 1-line block ×4, first 2 shown]
	s_waitcnt lgkmcnt(0)
	v_mul_f64 v[0:1], v[10:11], v[6:7]
	v_mul_f64 v[2:3], v[10:11], v[4:5]
	v_fmac_f64_e32 v[0:1], v[8:9], v[4:5]
	v_fma_f64 v[2:3], v[8:9], v[6:7], -v[2:3]
	ds_read_b128 v[4:7], v235 offset:448
	s_mul_i32 s6, s5, 0xe0
	v_accvgpr_read_b32 v16, a34
	v_mul_f64 v[0:1], v[0:1], s[0:1]
	v_mul_f64 v[2:3], v[2:3], s[0:1]
	v_add_u32_e32 v13, s6, v13
	v_accvgpr_read_b32 v18, a36
	v_accvgpr_read_b32 v19, a37
	global_store_dwordx4 v[12:13], v[0:3], off
	ds_read_b128 v[0:3], v235 offset:672
	v_accvgpr_read_b32 v17, a35
	s_waitcnt lgkmcnt(1)
	v_mul_f64 v[8:9], v[18:19], v[6:7]
	v_fmac_f64_e32 v[8:9], v[16:17], v[4:5]
	v_mul_f64 v[4:5], v[18:19], v[4:5]
	v_fma_f64 v[4:5], v[16:17], v[6:7], -v[4:5]
	v_mad_u64_u32 v[12:13], s[8:9], s4, v14, v[12:13]
	v_mul_f64 v[8:9], v[8:9], s[0:1]
	v_mul_f64 v[10:11], v[4:5], s[0:1]
	v_add_u32_e32 v13, s6, v13
	global_store_dwordx4 v[12:13], v[8:11], off
	v_accvgpr_read_b32 v6, a30
	v_accvgpr_read_b32 v7, a31
	;; [unrolled: 1-line block ×4, first 2 shown]
	s_waitcnt lgkmcnt(0)
	v_mul_f64 v[4:5], v[8:9], v[2:3]
	v_fmac_f64_e32 v[4:5], v[6:7], v[0:1]
	v_mul_f64 v[0:1], v[8:9], v[0:1]
	v_fma_f64 v[0:1], v[6:7], v[2:3], -v[0:1]
	v_mul_f64 v[6:7], v[0:1], s[0:1]
	ds_read_b128 v[0:3], v235 offset:896
	v_mad_u64_u32 v[12:13], s[8:9], s4, v14, v[12:13]
	v_mul_f64 v[4:5], v[4:5], s[0:1]
	v_add_u32_e32 v13, s6, v13
	global_store_dwordx4 v[12:13], v[4:7], off
	ds_read_b128 v[4:7], v235 offset:1120
	s_waitcnt lgkmcnt(1)
	v_mul_f64 v[8:9], v[50:51], v[2:3]
	v_fmac_f64_e32 v[8:9], v[48:49], v[0:1]
	v_mul_f64 v[0:1], v[50:51], v[0:1]
	v_fma_f64 v[0:1], v[48:49], v[2:3], -v[0:1]
	v_mad_u64_u32 v[12:13], s[8:9], s4, v14, v[12:13]
	v_mul_f64 v[8:9], v[8:9], s[0:1]
	v_mul_f64 v[10:11], v[0:1], s[0:1]
	v_add_u32_e32 v13, s6, v13
	global_store_dwordx4 v[12:13], v[8:11], off
	v_mad_u64_u32 v[12:13], s[8:9], s4, v14, v[12:13]
	s_nop 0
	v_accvgpr_read_b32 v8, a22
	v_accvgpr_read_b32 v10, a24
	;; [unrolled: 1-line block ×4, first 2 shown]
	s_waitcnt lgkmcnt(0)
	v_mul_f64 v[0:1], v[10:11], v[6:7]
	v_mul_f64 v[2:3], v[10:11], v[4:5]
	v_fmac_f64_e32 v[0:1], v[8:9], v[4:5]
	v_fma_f64 v[2:3], v[8:9], v[6:7], -v[2:3]
	ds_read_b128 v[4:7], v235 offset:1344
	v_mul_f64 v[0:1], v[0:1], s[0:1]
	v_mul_f64 v[2:3], v[2:3], s[0:1]
	v_add_u32_e32 v13, s6, v13
	global_store_dwordx4 v[12:13], v[0:3], off
	ds_read_b128 v[0:3], v235 offset:1568
	s_waitcnt lgkmcnt(1)
	v_mul_f64 v[8:9], v[46:47], v[6:7]
	v_fmac_f64_e32 v[8:9], v[44:45], v[4:5]
	v_mul_f64 v[4:5], v[46:47], v[4:5]
	v_fma_f64 v[4:5], v[44:45], v[6:7], -v[4:5]
	v_mad_u64_u32 v[12:13], s[8:9], s4, v14, v[12:13]
	v_mul_f64 v[8:9], v[8:9], s[0:1]
	v_mul_f64 v[10:11], v[4:5], s[0:1]
	v_add_u32_e32 v13, s6, v13
	global_store_dwordx4 v[12:13], v[8:11], off
	v_accvgpr_read_b32 v6, a14
	v_accvgpr_read_b32 v7, a15
	;; [unrolled: 1-line block ×4, first 2 shown]
	s_waitcnt lgkmcnt(0)
	v_mul_f64 v[4:5], v[8:9], v[2:3]
	v_fmac_f64_e32 v[4:5], v[6:7], v[0:1]
	v_mul_f64 v[0:1], v[8:9], v[0:1]
	v_fma_f64 v[0:1], v[6:7], v[2:3], -v[0:1]
	v_mul_f64 v[6:7], v[0:1], s[0:1]
	ds_read_b128 v[0:3], v235 offset:1792
	v_mad_u64_u32 v[12:13], s[8:9], s4, v14, v[12:13]
	v_accvgpr_read_b32 v16, a42
	v_mul_f64 v[4:5], v[4:5], s[0:1]
	v_add_u32_e32 v13, s6, v13
	v_accvgpr_read_b32 v18, a44
	v_accvgpr_read_b32 v19, a45
	global_store_dwordx4 v[12:13], v[4:7], off
	ds_read_b128 v[4:7], v235 offset:2016
	v_accvgpr_read_b32 v17, a43
	s_waitcnt lgkmcnt(1)
	v_mul_f64 v[8:9], v[18:19], v[2:3]
	v_fmac_f64_e32 v[8:9], v[16:17], v[0:1]
	v_mul_f64 v[0:1], v[18:19], v[0:1]
	v_fma_f64 v[0:1], v[16:17], v[2:3], -v[0:1]
	v_mul_f64 v[10:11], v[0:1], s[0:1]
	v_mad_u64_u32 v[0:1], s[8:9], s4, v237, 0
	v_mov_b32_e32 v2, v1
	v_mad_u64_u32 v[2:3], s[8:9], s5, v237, v[2:3]
	v_mov_b32_e32 v1, v2
	v_mul_f64 v[8:9], v[8:9], s[0:1]
	v_lshl_add_u64 v[0:1], v[0:1], 4, v[36:37]
	global_store_dwordx4 v[0:1], v[8:11], off
	s_mul_i32 s7, s5, 0x1c0
	v_accvgpr_read_b32 v19, a5
	v_accvgpr_read_b32 v8, a26
	;; [unrolled: 1-line block ×5, first 2 shown]
	s_waitcnt lgkmcnt(0)
	v_mul_f64 v[0:1], v[10:11], v[6:7]
	v_fmac_f64_e32 v[0:1], v[8:9], v[4:5]
	v_mul_f64 v[2:3], v[10:11], v[4:5]
	v_mov_b32_e32 v4, 0x1c0
	v_fma_f64 v[2:3], v[8:9], v[6:7], -v[2:3]
	v_mad_u64_u32 v[12:13], s[8:9], s4, v4, v[12:13]
	ds_read_b128 v[4:7], v235 offset:2240
	v_mul_f64 v[0:1], v[0:1], s[0:1]
	v_mul_f64 v[2:3], v[2:3], s[0:1]
	v_add_u32_e32 v13, s7, v13
	v_accvgpr_read_b32 v18, a4
	global_store_dwordx4 v[12:13], v[0:3], off
	ds_read_b128 v[0:3], v235 offset:2464
	v_accvgpr_read_b32 v17, a3
	v_accvgpr_read_b32 v16, a2
	s_waitcnt lgkmcnt(1)
	v_mul_f64 v[8:9], v[18:19], v[6:7]
	v_fmac_f64_e32 v[8:9], v[16:17], v[4:5]
	v_mul_f64 v[4:5], v[18:19], v[4:5]
	v_fma_f64 v[4:5], v[16:17], v[6:7], -v[4:5]
	v_mad_u64_u32 v[12:13], s[8:9], s4, v14, v[12:13]
	v_mul_f64 v[8:9], v[8:9], s[0:1]
	v_mul_f64 v[10:11], v[4:5], s[0:1]
	v_add_u32_e32 v13, s6, v13
	global_store_dwordx4 v[12:13], v[8:11], off
	v_accvgpr_read_b32 v6, a6
	v_accvgpr_read_b32 v7, a7
	;; [unrolled: 1-line block ×4, first 2 shown]
	s_waitcnt lgkmcnt(0)
	v_mul_f64 v[4:5], v[8:9], v[2:3]
	v_fmac_f64_e32 v[4:5], v[6:7], v[0:1]
	v_mul_f64 v[0:1], v[8:9], v[0:1]
	v_fma_f64 v[0:1], v[6:7], v[2:3], -v[0:1]
	v_mul_f64 v[6:7], v[0:1], s[0:1]
	ds_read_b128 v[0:3], v235 offset:2688
	v_mad_u64_u32 v[8:9], s[8:9], s4, v14, v[12:13]
	v_accvgpr_read_b32 v10, a10
	v_mul_f64 v[4:5], v[4:5], s[0:1]
	v_add_u32_e32 v9, s6, v9
	v_accvgpr_read_b32 v12, a12
	v_accvgpr_read_b32 v13, a13
	global_store_dwordx4 v[8:9], v[4:7], off
	v_accvgpr_read_b32 v11, a11
	s_waitcnt lgkmcnt(0)
	v_mul_f64 v[4:5], v[12:13], v[2:3]
	v_fmac_f64_e32 v[4:5], v[10:11], v[0:1]
	v_mul_f64 v[0:1], v[12:13], v[0:1]
	v_fma_f64 v[0:1], v[10:11], v[2:3], -v[0:1]
	v_mul_f64 v[6:7], v[0:1], s[0:1]
	v_mad_u64_u32 v[0:1], s[8:9], s4, v14, v[8:9]
	v_mul_f64 v[4:5], v[4:5], s[0:1]
	v_add_u32_e32 v1, s6, v1
	global_store_dwordx4 v[0:1], v[4:7], off
	s_and_b64 exec, exec, vcc
	s_cbranch_execz .LBB0_15
; %bb.14:
	s_load_dwordx4 s[8:11], s[2:3], 0xd0
	ds_read_b128 v[0:3], v233 offset:208
	ds_read_b128 v[4:7], v233 offset:432
	s_waitcnt lgkmcnt(0)
	v_mul_f64 v[8:9], v[2:3], s[10:11]
	v_fmac_f64_e32 v[8:9], s[8:9], v[0:1]
	v_mul_f64 v[10:11], v[0:1], s[10:11]
	v_mul_f64 v[0:1], v[8:9], s[0:1]
	v_mov_b32_e32 v8, 0xd0
	v_mad_u64_u32 v[8:9], s[6:7], s4, v8, v[36:37]
	v_fma_f64 v[2:3], s[8:9], v[2:3], -v[10:11]
	s_mul_i32 s6, s5, 0xd0
	v_mul_f64 v[2:3], v[2:3], s[0:1]
	v_add_u32_e32 v9, s6, v9
	global_store_dwordx4 v[8:9], v[0:3], off
	s_load_dwordx4 s[8:11], s[2:3], 0x1b0
	s_waitcnt lgkmcnt(0)
	v_mul_f64 v[0:1], v[6:7], s[10:11]
	v_fmac_f64_e32 v[0:1], s[8:9], v[4:5]
	v_mul_f64 v[2:3], v[4:5], s[10:11]
	v_mov_b32_e32 v4, 0x1b0
	v_mad_u64_u32 v[4:5], s[6:7], s4, v4, v[36:37]
	v_fma_f64 v[2:3], s[8:9], v[6:7], -v[2:3]
	s_mul_i32 s6, s5, 0x1b0
	v_mul_f64 v[0:1], v[0:1], s[0:1]
	v_mul_f64 v[2:3], v[2:3], s[0:1]
	v_add_u32_e32 v5, s6, v5
	global_store_dwordx4 v[4:5], v[0:3], off
	s_load_dwordx4 s[8:11], s[2:3], 0x290
	ds_read_b128 v[0:3], v233 offset:656
	ds_read_b128 v[4:7], v233 offset:880
	s_waitcnt lgkmcnt(0)
	v_mul_f64 v[8:9], v[2:3], s[10:11]
	v_fmac_f64_e32 v[8:9], s[8:9], v[0:1]
	v_mul_f64 v[0:1], v[0:1], s[10:11]
	v_fma_f64 v[0:1], s[8:9], v[2:3], -v[0:1]
	v_mul_f64 v[10:11], v[0:1], s[0:1]
	v_mov_b32_e32 v0, 0x290
	v_mad_u64_u32 v[0:1], s[6:7], s4, v0, v[36:37]
	s_mul_i32 s6, s5, 0x290
	v_mul_f64 v[8:9], v[8:9], s[0:1]
	v_add_u32_e32 v1, s6, v1
	global_store_dwordx4 v[0:1], v[8:11], off
	s_load_dwordx4 s[8:11], s[2:3], 0x370
	s_waitcnt lgkmcnt(0)
	v_mul_f64 v[0:1], v[6:7], s[10:11]
	v_fmac_f64_e32 v[0:1], s[8:9], v[4:5]
	v_mul_f64 v[2:3], v[4:5], s[10:11]
	v_mov_b32_e32 v4, 0x370
	v_mad_u64_u32 v[4:5], s[6:7], s4, v4, v[36:37]
	v_fma_f64 v[2:3], s[8:9], v[6:7], -v[2:3]
	s_mul_i32 s6, s5, 0x370
	v_mul_f64 v[0:1], v[0:1], s[0:1]
	v_mul_f64 v[2:3], v[2:3], s[0:1]
	v_add_u32_e32 v5, s6, v5
	global_store_dwordx4 v[4:5], v[0:3], off
	s_load_dwordx4 s[8:11], s[2:3], 0x450
	ds_read_b128 v[0:3], v233 offset:1104
	ds_read_b128 v[4:7], v233 offset:1328
	s_waitcnt lgkmcnt(0)
	v_mul_f64 v[8:9], v[2:3], s[10:11]
	v_fmac_f64_e32 v[8:9], s[8:9], v[0:1]
	v_mul_f64 v[0:1], v[0:1], s[10:11]
	v_fma_f64 v[0:1], s[8:9], v[2:3], -v[0:1]
	v_mul_f64 v[10:11], v[0:1], s[0:1]
	v_mov_b32_e32 v0, 0x450
	v_mad_u64_u32 v[0:1], s[6:7], s4, v0, v[36:37]
	;; [unrolled: 28-line block ×5, first 2 shown]
	s_mul_i32 s6, s5, 0x990
	v_mul_f64 v[8:9], v[8:9], s[0:1]
	v_add_u32_e32 v1, s6, v1
	global_store_dwordx4 v[0:1], v[8:11], off
	s_load_dwordx4 s[8:11], s[2:3], 0xa70
	s_waitcnt lgkmcnt(0)
	v_mul_f64 v[0:1], v[6:7], s[10:11]
	v_fmac_f64_e32 v[0:1], s[8:9], v[4:5]
	v_mul_f64 v[2:3], v[4:5], s[10:11]
	v_mov_b32_e32 v4, 0xa70
	v_mad_u64_u32 v[4:5], s[6:7], s4, v4, v[36:37]
	v_fma_f64 v[2:3], s[8:9], v[6:7], -v[2:3]
	s_mul_i32 s6, s5, 0xa70
	v_mul_f64 v[0:1], v[0:1], s[0:1]
	v_mul_f64 v[2:3], v[2:3], s[0:1]
	v_add_u32_e32 v5, s6, v5
	global_store_dwordx4 v[4:5], v[0:3], off
	ds_read_b128 v[0:3], v233 offset:2896
	s_load_dwordx4 s[8:11], s[2:3], 0xb50
	s_waitcnt lgkmcnt(0)
	v_mul_f64 v[4:5], v[2:3], s[10:11]
	v_fmac_f64_e32 v[4:5], s[8:9], v[0:1]
	v_mul_f64 v[0:1], v[0:1], s[10:11]
	v_fma_f64 v[0:1], s[8:9], v[2:3], -v[0:1]
	v_mul_f64 v[6:7], v[0:1], s[0:1]
	v_mov_b32_e32 v0, 0xb50
	v_mul_f64 v[4:5], v[4:5], s[0:1]
	v_mad_u64_u32 v[0:1], s[0:1], s4, v0, v[36:37]
	s_mul_i32 s0, s5, 0xb50
	s_nop 0
	v_add_u32_e32 v1, s0, v1
	global_store_dwordx4 v[0:1], v[4:7], off
.LBB0_15:
	s_endpgm
	.section	.rodata,"a",@progbits
	.p2align	6, 0x0
	.amdhsa_kernel bluestein_single_back_len182_dim1_dp_op_CI_CI
		.amdhsa_group_segment_fixed_size 11648
		.amdhsa_private_segment_fixed_size 0
		.amdhsa_kernarg_size 104
		.amdhsa_user_sgpr_count 2
		.amdhsa_user_sgpr_dispatch_ptr 0
		.amdhsa_user_sgpr_queue_ptr 0
		.amdhsa_user_sgpr_kernarg_segment_ptr 1
		.amdhsa_user_sgpr_dispatch_id 0
		.amdhsa_user_sgpr_kernarg_preload_length 0
		.amdhsa_user_sgpr_kernarg_preload_offset 0
		.amdhsa_user_sgpr_private_segment_size 0
		.amdhsa_uses_dynamic_stack 0
		.amdhsa_enable_private_segment 0
		.amdhsa_system_sgpr_workgroup_id_x 1
		.amdhsa_system_sgpr_workgroup_id_y 0
		.amdhsa_system_sgpr_workgroup_id_z 0
		.amdhsa_system_sgpr_workgroup_info 0
		.amdhsa_system_vgpr_workitem_id 0
		.amdhsa_next_free_vgpr 306
		.amdhsa_next_free_sgpr 48
		.amdhsa_accum_offset 256
		.amdhsa_reserve_vcc 1
		.amdhsa_float_round_mode_32 0
		.amdhsa_float_round_mode_16_64 0
		.amdhsa_float_denorm_mode_32 3
		.amdhsa_float_denorm_mode_16_64 3
		.amdhsa_dx10_clamp 1
		.amdhsa_ieee_mode 1
		.amdhsa_fp16_overflow 0
		.amdhsa_tg_split 0
		.amdhsa_exception_fp_ieee_invalid_op 0
		.amdhsa_exception_fp_denorm_src 0
		.amdhsa_exception_fp_ieee_div_zero 0
		.amdhsa_exception_fp_ieee_overflow 0
		.amdhsa_exception_fp_ieee_underflow 0
		.amdhsa_exception_fp_ieee_inexact 0
		.amdhsa_exception_int_div_zero 0
	.end_amdhsa_kernel
	.text
.Lfunc_end0:
	.size	bluestein_single_back_len182_dim1_dp_op_CI_CI, .Lfunc_end0-bluestein_single_back_len182_dim1_dp_op_CI_CI
                                        ; -- End function
	.section	.AMDGPU.csdata,"",@progbits
; Kernel info:
; codeLenInByte = 26676
; NumSgprs: 54
; NumVgprs: 256
; NumAgprs: 50
; TotalNumVgprs: 306
; ScratchSize: 0
; MemoryBound: 0
; FloatMode: 240
; IeeeMode: 1
; LDSByteSize: 11648 bytes/workgroup (compile time only)
; SGPRBlocks: 6
; VGPRBlocks: 38
; NumSGPRsForWavesPerEU: 54
; NumVGPRsForWavesPerEU: 306
; AccumOffset: 256
; Occupancy: 1
; WaveLimiterHint : 1
; COMPUTE_PGM_RSRC2:SCRATCH_EN: 0
; COMPUTE_PGM_RSRC2:USER_SGPR: 2
; COMPUTE_PGM_RSRC2:TRAP_HANDLER: 0
; COMPUTE_PGM_RSRC2:TGID_X_EN: 1
; COMPUTE_PGM_RSRC2:TGID_Y_EN: 0
; COMPUTE_PGM_RSRC2:TGID_Z_EN: 0
; COMPUTE_PGM_RSRC2:TIDIG_COMP_CNT: 0
; COMPUTE_PGM_RSRC3_GFX90A:ACCUM_OFFSET: 63
; COMPUTE_PGM_RSRC3_GFX90A:TG_SPLIT: 0
	.text
	.p2alignl 6, 3212836864
	.fill 256, 4, 3212836864
	.type	__hip_cuid_b92f991be9400db5,@object ; @__hip_cuid_b92f991be9400db5
	.section	.bss,"aw",@nobits
	.globl	__hip_cuid_b92f991be9400db5
__hip_cuid_b92f991be9400db5:
	.byte	0                               ; 0x0
	.size	__hip_cuid_b92f991be9400db5, 1

	.ident	"AMD clang version 19.0.0git (https://github.com/RadeonOpenCompute/llvm-project roc-6.4.0 25133 c7fe45cf4b819c5991fe208aaa96edf142730f1d)"
	.section	".note.GNU-stack","",@progbits
	.addrsig
	.addrsig_sym __hip_cuid_b92f991be9400db5
	.amdgpu_metadata
---
amdhsa.kernels:
  - .agpr_count:     50
    .args:
      - .actual_access:  read_only
        .address_space:  global
        .offset:         0
        .size:           8
        .value_kind:     global_buffer
      - .actual_access:  read_only
        .address_space:  global
        .offset:         8
        .size:           8
        .value_kind:     global_buffer
      - .actual_access:  read_only
        .address_space:  global
        .offset:         16
        .size:           8
        .value_kind:     global_buffer
      - .actual_access:  read_only
        .address_space:  global
        .offset:         24
        .size:           8
        .value_kind:     global_buffer
      - .actual_access:  read_only
        .address_space:  global
        .offset:         32
        .size:           8
        .value_kind:     global_buffer
      - .offset:         40
        .size:           8
        .value_kind:     by_value
      - .address_space:  global
        .offset:         48
        .size:           8
        .value_kind:     global_buffer
      - .address_space:  global
        .offset:         56
        .size:           8
        .value_kind:     global_buffer
      - .address_space:  global
        .offset:         64
        .size:           8
        .value_kind:     global_buffer
      - .address_space:  global
        .offset:         72
        .size:           8
        .value_kind:     global_buffer
      - .offset:         80
        .size:           4
        .value_kind:     by_value
      - .address_space:  global
        .offset:         88
        .size:           8
        .value_kind:     global_buffer
      - .address_space:  global
        .offset:         96
        .size:           8
        .value_kind:     global_buffer
    .group_segment_fixed_size: 11648
    .kernarg_segment_align: 8
    .kernarg_segment_size: 104
    .language:       OpenCL C
    .language_version:
      - 2
      - 0
    .max_flat_workgroup_size: 52
    .name:           bluestein_single_back_len182_dim1_dp_op_CI_CI
    .private_segment_fixed_size: 0
    .sgpr_count:     54
    .sgpr_spill_count: 0
    .symbol:         bluestein_single_back_len182_dim1_dp_op_CI_CI.kd
    .uniform_work_group_size: 1
    .uses_dynamic_stack: false
    .vgpr_count:     306
    .vgpr_spill_count: 0
    .wavefront_size: 64
amdhsa.target:   amdgcn-amd-amdhsa--gfx950
amdhsa.version:
  - 1
  - 2
...

	.end_amdgpu_metadata
